;; amdgpu-corpus repo=ROCm/rocFFT kind=compiled arch=gfx906 opt=O3
	.text
	.amdgcn_target "amdgcn-amd-amdhsa--gfx906"
	.amdhsa_code_object_version 6
	.protected	fft_rtc_fwd_len2700_factors_3_10_10_3_3_wgs_90_tpt_90_halfLds_sp_op_CI_CI_unitstride_sbrr_dirReg ; -- Begin function fft_rtc_fwd_len2700_factors_3_10_10_3_3_wgs_90_tpt_90_halfLds_sp_op_CI_CI_unitstride_sbrr_dirReg
	.globl	fft_rtc_fwd_len2700_factors_3_10_10_3_3_wgs_90_tpt_90_halfLds_sp_op_CI_CI_unitstride_sbrr_dirReg
	.p2align	8
	.type	fft_rtc_fwd_len2700_factors_3_10_10_3_3_wgs_90_tpt_90_halfLds_sp_op_CI_CI_unitstride_sbrr_dirReg,@function
fft_rtc_fwd_len2700_factors_3_10_10_3_3_wgs_90_tpt_90_halfLds_sp_op_CI_CI_unitstride_sbrr_dirReg: ; @fft_rtc_fwd_len2700_factors_3_10_10_3_3_wgs_90_tpt_90_halfLds_sp_op_CI_CI_unitstride_sbrr_dirReg
; %bb.0:
	s_load_dwordx4 s[8:11], s[4:5], 0x58
	s_load_dwordx4 s[12:15], s[4:5], 0x0
	;; [unrolled: 1-line block ×3, first 2 shown]
	v_mul_u32_u24_e32 v1, 0x2d9, v0
	v_mov_b32_e32 v7, 0
	v_mov_b32_e32 v5, 0
	s_waitcnt lgkmcnt(0)
	v_cmp_lt_u64_e64 s[0:1], s[14:15], 2
	v_add_u32_sdwa v9, s6, v1 dst_sel:DWORD dst_unused:UNUSED_PAD src0_sel:DWORD src1_sel:WORD_1
	v_mov_b32_e32 v10, v7
	s_and_b64 vcc, exec, s[0:1]
	v_mov_b32_e32 v6, 0
	s_cbranch_vccnz .LBB0_8
; %bb.1:
	s_load_dwordx2 s[0:1], s[4:5], 0x10
	s_add_u32 s2, s18, 8
	s_addc_u32 s3, s19, 0
	s_add_u32 s6, s16, 8
	s_addc_u32 s7, s17, 0
	v_mov_b32_e32 v5, 0
	s_waitcnt lgkmcnt(0)
	s_add_u32 s20, s0, 8
	v_mov_b32_e32 v6, 0
	v_mov_b32_e32 v1, v5
	s_addc_u32 s21, s1, 0
	s_mov_b64 s[22:23], 1
	v_mov_b32_e32 v2, v6
.LBB0_2:                                ; =>This Inner Loop Header: Depth=1
	s_load_dwordx2 s[24:25], s[20:21], 0x0
                                        ; implicit-def: $vgpr3_vgpr4
	s_waitcnt lgkmcnt(0)
	v_or_b32_e32 v8, s25, v10
	v_cmp_ne_u64_e32 vcc, 0, v[7:8]
	s_and_saveexec_b64 s[0:1], vcc
	s_xor_b64 s[26:27], exec, s[0:1]
	s_cbranch_execz .LBB0_4
; %bb.3:                                ;   in Loop: Header=BB0_2 Depth=1
	v_cvt_f32_u32_e32 v3, s24
	v_cvt_f32_u32_e32 v4, s25
	s_sub_u32 s0, 0, s24
	s_subb_u32 s1, 0, s25
	v_mac_f32_e32 v3, 0x4f800000, v4
	v_rcp_f32_e32 v3, v3
	v_mul_f32_e32 v3, 0x5f7ffffc, v3
	v_mul_f32_e32 v4, 0x2f800000, v3
	v_trunc_f32_e32 v4, v4
	v_mac_f32_e32 v3, 0xcf800000, v4
	v_cvt_u32_f32_e32 v4, v4
	v_cvt_u32_f32_e32 v3, v3
	v_mul_lo_u32 v8, s0, v4
	v_mul_hi_u32 v11, s0, v3
	v_mul_lo_u32 v13, s1, v3
	v_mul_lo_u32 v12, s0, v3
	v_add_u32_e32 v8, v11, v8
	v_add_u32_e32 v8, v8, v13
	v_mul_hi_u32 v11, v3, v12
	v_mul_lo_u32 v13, v3, v8
	v_mul_hi_u32 v15, v3, v8
	v_mul_hi_u32 v14, v4, v12
	v_mul_lo_u32 v12, v4, v12
	v_mul_hi_u32 v16, v4, v8
	v_add_co_u32_e32 v11, vcc, v11, v13
	v_addc_co_u32_e32 v13, vcc, 0, v15, vcc
	v_mul_lo_u32 v8, v4, v8
	v_add_co_u32_e32 v11, vcc, v11, v12
	v_addc_co_u32_e32 v11, vcc, v13, v14, vcc
	v_addc_co_u32_e32 v12, vcc, 0, v16, vcc
	v_add_co_u32_e32 v8, vcc, v11, v8
	v_addc_co_u32_e32 v11, vcc, 0, v12, vcc
	v_add_co_u32_e32 v3, vcc, v3, v8
	v_addc_co_u32_e32 v4, vcc, v4, v11, vcc
	v_mul_lo_u32 v8, s0, v4
	v_mul_hi_u32 v11, s0, v3
	v_mul_lo_u32 v12, s1, v3
	v_mul_lo_u32 v13, s0, v3
	v_add_u32_e32 v8, v11, v8
	v_add_u32_e32 v8, v8, v12
	v_mul_lo_u32 v14, v3, v8
	v_mul_hi_u32 v15, v3, v13
	v_mul_hi_u32 v16, v3, v8
	v_mul_hi_u32 v12, v4, v13
	v_mul_lo_u32 v13, v4, v13
	v_mul_hi_u32 v11, v4, v8
	v_add_co_u32_e32 v14, vcc, v15, v14
	v_addc_co_u32_e32 v15, vcc, 0, v16, vcc
	v_mul_lo_u32 v8, v4, v8
	v_add_co_u32_e32 v13, vcc, v14, v13
	v_addc_co_u32_e32 v12, vcc, v15, v12, vcc
	v_addc_co_u32_e32 v11, vcc, 0, v11, vcc
	v_add_co_u32_e32 v8, vcc, v12, v8
	v_addc_co_u32_e32 v11, vcc, 0, v11, vcc
	v_add_co_u32_e32 v8, vcc, v3, v8
	v_addc_co_u32_e32 v11, vcc, v4, v11, vcc
	v_mad_u64_u32 v[3:4], s[0:1], v9, v11, 0
	v_mul_hi_u32 v12, v9, v8
	v_add_co_u32_e32 v13, vcc, v12, v3
	v_addc_co_u32_e32 v14, vcc, 0, v4, vcc
	v_mad_u64_u32 v[3:4], s[0:1], v10, v8, 0
	v_mad_u64_u32 v[11:12], s[0:1], v10, v11, 0
	v_add_co_u32_e32 v3, vcc, v13, v3
	v_addc_co_u32_e32 v3, vcc, v14, v4, vcc
	v_addc_co_u32_e32 v4, vcc, 0, v12, vcc
	v_add_co_u32_e32 v8, vcc, v3, v11
	v_addc_co_u32_e32 v11, vcc, 0, v4, vcc
	v_mul_lo_u32 v12, s25, v8
	v_mul_lo_u32 v13, s24, v11
	v_mad_u64_u32 v[3:4], s[0:1], s24, v8, 0
	v_add3_u32 v4, v4, v13, v12
	v_sub_u32_e32 v12, v10, v4
	v_mov_b32_e32 v13, s25
	v_sub_co_u32_e32 v3, vcc, v9, v3
	v_subb_co_u32_e64 v12, s[0:1], v12, v13, vcc
	v_subrev_co_u32_e64 v13, s[0:1], s24, v3
	v_subbrev_co_u32_e64 v12, s[0:1], 0, v12, s[0:1]
	v_cmp_le_u32_e64 s[0:1], s25, v12
	v_cndmask_b32_e64 v14, 0, -1, s[0:1]
	v_cmp_le_u32_e64 s[0:1], s24, v13
	v_cndmask_b32_e64 v13, 0, -1, s[0:1]
	v_cmp_eq_u32_e64 s[0:1], s25, v12
	v_cndmask_b32_e64 v12, v14, v13, s[0:1]
	v_add_co_u32_e64 v13, s[0:1], 2, v8
	v_addc_co_u32_e64 v14, s[0:1], 0, v11, s[0:1]
	v_add_co_u32_e64 v15, s[0:1], 1, v8
	v_addc_co_u32_e64 v16, s[0:1], 0, v11, s[0:1]
	v_subb_co_u32_e32 v4, vcc, v10, v4, vcc
	v_cmp_ne_u32_e64 s[0:1], 0, v12
	v_cmp_le_u32_e32 vcc, s25, v4
	v_cndmask_b32_e64 v12, v16, v14, s[0:1]
	v_cndmask_b32_e64 v14, 0, -1, vcc
	v_cmp_le_u32_e32 vcc, s24, v3
	v_cndmask_b32_e64 v3, 0, -1, vcc
	v_cmp_eq_u32_e32 vcc, s25, v4
	v_cndmask_b32_e32 v3, v14, v3, vcc
	v_cmp_ne_u32_e32 vcc, 0, v3
	v_cndmask_b32_e64 v3, v15, v13, s[0:1]
	v_cndmask_b32_e32 v4, v11, v12, vcc
	v_cndmask_b32_e32 v3, v8, v3, vcc
.LBB0_4:                                ;   in Loop: Header=BB0_2 Depth=1
	s_andn2_saveexec_b64 s[0:1], s[26:27]
	s_cbranch_execz .LBB0_6
; %bb.5:                                ;   in Loop: Header=BB0_2 Depth=1
	v_cvt_f32_u32_e32 v3, s24
	s_sub_i32 s26, 0, s24
	v_rcp_iflag_f32_e32 v3, v3
	v_mul_f32_e32 v3, 0x4f7ffffe, v3
	v_cvt_u32_f32_e32 v3, v3
	v_mul_lo_u32 v4, s26, v3
	v_mul_hi_u32 v4, v3, v4
	v_add_u32_e32 v3, v3, v4
	v_mul_hi_u32 v3, v9, v3
	v_mul_lo_u32 v4, v3, s24
	v_add_u32_e32 v8, 1, v3
	v_sub_u32_e32 v4, v9, v4
	v_subrev_u32_e32 v11, s24, v4
	v_cmp_le_u32_e32 vcc, s24, v4
	v_cndmask_b32_e32 v4, v4, v11, vcc
	v_cndmask_b32_e32 v3, v3, v8, vcc
	v_add_u32_e32 v8, 1, v3
	v_cmp_le_u32_e32 vcc, s24, v4
	v_cndmask_b32_e32 v3, v3, v8, vcc
	v_mov_b32_e32 v4, v7
.LBB0_6:                                ;   in Loop: Header=BB0_2 Depth=1
	s_or_b64 exec, exec, s[0:1]
	v_mul_lo_u32 v8, v4, s24
	v_mul_lo_u32 v13, v3, s25
	v_mad_u64_u32 v[11:12], s[0:1], v3, s24, 0
	s_load_dwordx2 s[0:1], s[6:7], 0x0
	s_load_dwordx2 s[24:25], s[2:3], 0x0
	v_add3_u32 v8, v12, v13, v8
	v_sub_co_u32_e32 v9, vcc, v9, v11
	v_subb_co_u32_e32 v8, vcc, v10, v8, vcc
	s_waitcnt lgkmcnt(0)
	v_mul_lo_u32 v10, s0, v8
	v_mul_lo_u32 v11, s1, v9
	v_mad_u64_u32 v[5:6], s[0:1], s0, v9, v[5:6]
	v_mul_lo_u32 v8, s24, v8
	v_mul_lo_u32 v12, s25, v9
	v_mad_u64_u32 v[1:2], s[0:1], s24, v9, v[1:2]
	s_add_u32 s22, s22, 1
	s_addc_u32 s23, s23, 0
	s_add_u32 s2, s2, 8
	v_add3_u32 v2, v12, v2, v8
	s_addc_u32 s3, s3, 0
	v_mov_b32_e32 v8, s14
	s_add_u32 s6, s6, 8
	v_mov_b32_e32 v9, s15
	s_addc_u32 s7, s7, 0
	v_cmp_ge_u64_e32 vcc, s[22:23], v[8:9]
	s_add_u32 s20, s20, 8
	v_add3_u32 v6, v11, v6, v10
	s_addc_u32 s21, s21, 0
	s_cbranch_vccnz .LBB0_9
; %bb.7:                                ;   in Loop: Header=BB0_2 Depth=1
	v_mov_b32_e32 v10, v4
	v_mov_b32_e32 v9, v3
	s_branch .LBB0_2
.LBB0_8:
	v_mov_b32_e32 v1, v5
	v_mov_b32_e32 v3, v9
	;; [unrolled: 1-line block ×4, first 2 shown]
.LBB0_9:
	s_load_dwordx2 s[4:5], s[4:5], 0x28
	s_lshl_b64 s[6:7], s[14:15], 3
	s_add_u32 s2, s18, s6
	s_addc_u32 s3, s19, s7
                                        ; implicit-def: $vgpr68
	s_waitcnt lgkmcnt(0)
	v_cmp_gt_u64_e64 s[0:1], s[4:5], v[3:4]
	v_cmp_le_u64_e32 vcc, s[4:5], v[3:4]
	s_and_saveexec_b64 s[4:5], vcc
	s_xor_b64 s[4:5], exec, s[4:5]
; %bb.10:
	s_mov_b32 s14, 0x2d82d83
	v_mul_hi_u32 v5, v0, s14
	v_mul_u32_u24_e32 v5, 0x5a, v5
	v_sub_u32_e32 v68, v0, v5
                                        ; implicit-def: $vgpr0
                                        ; implicit-def: $vgpr5_vgpr6
; %bb.11:
	s_or_saveexec_b64 s[4:5], s[4:5]
                                        ; implicit-def: $vgpr21
                                        ; implicit-def: $vgpr9
                                        ; implicit-def: $vgpr7
                                        ; implicit-def: $vgpr25
                                        ; implicit-def: $vgpr23
                                        ; implicit-def: $vgpr11
                                        ; implicit-def: $vgpr29
                                        ; implicit-def: $vgpr27
                                        ; implicit-def: $vgpr13
                                        ; implicit-def: $vgpr38
                                        ; implicit-def: $vgpr31
                                        ; implicit-def: $vgpr17
                                        ; implicit-def: $vgpr51
                                        ; implicit-def: $vgpr49
                                        ; implicit-def: $vgpr15
                                        ; implicit-def: $vgpr53
                                        ; implicit-def: $vgpr33
                                        ; implicit-def: $vgpr19
                                        ; implicit-def: $vgpr55
                                        ; implicit-def: $vgpr40
                                        ; implicit-def: $vgpr36
                                        ; implicit-def: $vgpr59
                                        ; implicit-def: $vgpr57
                                        ; implicit-def: $vgpr43
                                        ; implicit-def: $vgpr63
                                        ; implicit-def: $vgpr61
                                        ; implicit-def: $vgpr45
                                        ; implicit-def: $vgpr67
                                        ; implicit-def: $vgpr65
                                        ; implicit-def: $vgpr47
	s_xor_b64 exec, exec, s[4:5]
	s_cbranch_execz .LBB0_13
; %bb.12:
	s_add_u32 s6, s16, s6
	s_addc_u32 s7, s17, s7
	s_load_dwordx2 s[6:7], s[6:7], 0x0
	s_mov_b32 s14, 0x2d82d83
	v_mul_hi_u32 v9, v0, s14
	v_lshlrev_b64 v[5:6], 3, v[5:6]
	s_waitcnt lgkmcnt(0)
	v_mul_lo_u32 v10, s7, v3
	v_mul_lo_u32 v11, s6, v4
	v_mad_u64_u32 v[7:8], s[6:7], s6, v3, 0
	v_mul_u32_u24_e32 v9, 0x5a, v9
	v_sub_u32_e32 v68, v0, v9
	v_add3_u32 v8, v8, v11, v10
	v_lshlrev_b64 v[7:8], 3, v[7:8]
	v_mov_b32_e32 v0, s9
	v_add_co_u32_e32 v7, vcc, s8, v7
	v_addc_co_u32_e32 v0, vcc, v0, v8, vcc
	v_add_co_u32_e32 v5, vcc, v7, v5
	v_addc_co_u32_e32 v0, vcc, v0, v6, vcc
	v_lshlrev_b32_e32 v6, 3, v68
	v_add_co_u32_e32 v20, vcc, v5, v6
	v_addc_co_u32_e32 v21, vcc, 0, v0, vcc
	s_movk_i32 s6, 0x1000
	v_add_co_u32_e32 v24, vcc, s6, v20
	v_addc_co_u32_e32 v25, vcc, 0, v21, vcc
	s_movk_i32 s6, 0x3000
	v_add_co_u32_e32 v26, vcc, s6, v20
	v_addc_co_u32_e32 v27, vcc, 0, v21, vcc
	s_movk_i32 s6, 0x2000
	v_add_co_u32_e32 v69, vcc, s6, v20
	v_addc_co_u32_e32 v70, vcc, 0, v21, vcc
	s_movk_i32 s6, 0x4000
	v_add_co_u32_e32 v71, vcc, s6, v20
	v_addc_co_u32_e32 v72, vcc, 0, v21, vcc
	v_add_co_u32_e32 v73, vcc, 0x5000, v20
	global_load_dwordx2 v[46:47], v[20:21], off
	global_load_dwordx2 v[44:45], v[20:21], off offset:720
	global_load_dwordx2 v[42:43], v[20:21], off offset:1440
	;; [unrolled: 1-line block ×5, first 2 shown]
	v_addc_co_u32_e32 v74, vcc, 0, v21, vcc
	global_load_dwordx2 v[18:19], v[20:21], off offset:2880
	global_load_dwordx2 v[14:15], v[20:21], off offset:3600
	;; [unrolled: 1-line block ×15, first 2 shown]
                                        ; kill: killed $vgpr24 killed $vgpr25
                                        ; kill: killed $vgpr20 killed $vgpr21
                                        ; kill: killed $vgpr26 killed $vgpr27
	global_load_dwordx2 v[30:31], v[69:70], off offset:3328
	s_nop 0
	global_load_dwordx2 v[26:27], v[69:70], off offset:4048
	global_load_dwordx2 v[54:55], v[71:72], off offset:176
	;; [unrolled: 1-line block ×8, first 2 shown]
.LBB0_13:
	s_or_b64 exec, exec, s[4:5]
	s_waitcnt vmcnt(11)
	v_add_f32_e32 v5, v66, v64
	v_add_f32_e32 v0, v64, v46
	v_fmac_f32_e32 v46, -0.5, v5
	v_sub_f32_e32 v5, v65, v67
	v_mov_b32_e32 v34, v46
	v_fmac_f32_e32 v34, 0x3f5db3d7, v5
	v_fmac_f32_e32 v46, 0xbf5db3d7, v5
	v_add_f32_e32 v5, v65, v47
	v_add_f32_e32 v72, v67, v5
	;; [unrolled: 1-line block ×3, first 2 shown]
	v_fmac_f32_e32 v47, -0.5, v5
	v_sub_f32_e32 v5, v64, v66
	v_mov_b32_e32 v73, v47
	v_add_f32_e32 v41, v62, v60
	v_fmac_f32_e32 v73, 0xbf5db3d7, v5
	v_fmac_f32_e32 v47, 0x3f5db3d7, v5
	v_add_f32_e32 v5, v60, v44
	v_fmac_f32_e32 v44, -0.5, v41
	v_sub_f32_e32 v41, v61, v63
	v_mov_b32_e32 v64, v44
	v_fmac_f32_e32 v64, 0x3f5db3d7, v41
	v_fmac_f32_e32 v44, 0xbf5db3d7, v41
	v_add_f32_e32 v41, v61, v45
	v_add_f32_e32 v74, v63, v41
	;; [unrolled: 1-line block ×3, first 2 shown]
	v_fmac_f32_e32 v45, -0.5, v41
	v_sub_f32_e32 v41, v60, v62
	v_mov_b32_e32 v76, v45
	v_add_f32_e32 v60, v58, v56
	v_fmac_f32_e32 v76, 0xbf5db3d7, v41
	v_fmac_f32_e32 v45, 0x3f5db3d7, v41
	v_add_f32_e32 v41, v56, v42
	v_fmac_f32_e32 v42, -0.5, v60
	v_sub_f32_e32 v60, v57, v59
	v_mov_b32_e32 v61, v42
	v_fmac_f32_e32 v61, 0x3f5db3d7, v60
	v_fmac_f32_e32 v42, 0xbf5db3d7, v60
	v_add_f32_e32 v60, v57, v43
	v_add_f32_e32 v57, v59, v57
	v_fmac_f32_e32 v43, -0.5, v57
	v_sub_f32_e32 v56, v56, v58
	v_mov_b32_e32 v78, v43
	v_fmac_f32_e32 v78, 0xbf5db3d7, v56
	v_fmac_f32_e32 v43, 0x3f5db3d7, v56
	v_add_f32_e32 v56, v39, v35
	s_waitcnt vmcnt(6)
	v_add_f32_e32 v57, v54, v56
	v_add_f32_e32 v56, v54, v39
	v_fmac_f32_e32 v35, -0.5, v56
	v_add_f32_e32 v41, v58, v41
	v_sub_f32_e32 v56, v40, v55
	v_mov_b32_e32 v58, v35
	v_fmac_f32_e32 v58, 0x3f5db3d7, v56
	v_fmac_f32_e32 v35, 0xbf5db3d7, v56
	v_add_f32_e32 v56, v40, v36
	v_add_f32_e32 v40, v55, v40
	v_fmac_f32_e32 v36, -0.5, v40
	v_sub_f32_e32 v39, v39, v54
	v_mov_b32_e32 v82, v36
	s_waitcnt vmcnt(5)
	v_add_f32_e32 v40, v52, v32
	v_fmac_f32_e32 v82, 0xbf5db3d7, v39
	v_fmac_f32_e32 v36, 0x3f5db3d7, v39
	v_add_f32_e32 v39, v32, v18
	v_fmac_f32_e32 v18, -0.5, v40
	v_add_f32_e32 v77, v59, v60
	v_sub_f32_e32 v40, v33, v53
	v_mov_b32_e32 v59, v18
	v_fmac_f32_e32 v59, 0x3f5db3d7, v40
	v_fmac_f32_e32 v18, 0xbf5db3d7, v40
	v_add_f32_e32 v40, v33, v19
	v_add_f32_e32 v33, v53, v33
	v_fmac_f32_e32 v19, -0.5, v33
	v_add_f32_e32 v81, v55, v56
	v_sub_f32_e32 v32, v32, v52
	v_mov_b32_e32 v55, v19
	s_waitcnt vmcnt(4)
	v_add_f32_e32 v33, v50, v48
	v_fmac_f32_e32 v55, 0xbf5db3d7, v32
	v_fmac_f32_e32 v19, 0x3f5db3d7, v32
	v_add_f32_e32 v32, v48, v14
	v_fmac_f32_e32 v14, -0.5, v33
	v_add_f32_e32 v54, v53, v40
	v_sub_f32_e32 v33, v49, v51
	v_mov_b32_e32 v40, v14
	v_fmac_f32_e32 v40, 0x3f5db3d7, v33
	v_fmac_f32_e32 v14, 0xbf5db3d7, v33
	v_add_f32_e32 v33, v49, v15
	v_add_f32_e32 v39, v52, v39
	;; [unrolled: 1-line block ×4, first 2 shown]
	v_fmac_f32_e32 v15, -0.5, v33
	v_sub_f32_e32 v33, v48, v50
	v_mov_b32_e32 v53, v15
	s_waitcnt vmcnt(3)
	v_add_f32_e32 v48, v37, v30
	v_fmac_f32_e32 v53, 0xbf5db3d7, v33
	v_fmac_f32_e32 v15, 0x3f5db3d7, v33
	v_add_f32_e32 v33, v30, v16
	v_fmac_f32_e32 v16, -0.5, v48
	v_sub_f32_e32 v48, v31, v38
	v_mov_b32_e32 v49, v16
	v_fmac_f32_e32 v49, 0x3f5db3d7, v48
	v_fmac_f32_e32 v16, 0xbf5db3d7, v48
	v_add_f32_e32 v48, v31, v17
	v_add_f32_e32 v31, v38, v31
	v_fmac_f32_e32 v17, -0.5, v31
	v_sub_f32_e32 v30, v30, v37
	v_mov_b32_e32 v75, v17
	s_waitcnt vmcnt(2)
	v_add_f32_e32 v31, v28, v26
	v_fmac_f32_e32 v75, 0xbf5db3d7, v30
	v_fmac_f32_e32 v17, 0x3f5db3d7, v30
	v_add_f32_e32 v30, v26, v12
	v_fmac_f32_e32 v12, -0.5, v31
	v_add_f32_e32 v33, v37, v33
	v_sub_f32_e32 v31, v27, v29
	v_mov_b32_e32 v37, v12
	v_fmac_f32_e32 v37, 0x3f5db3d7, v31
	v_fmac_f32_e32 v12, 0xbf5db3d7, v31
	v_add_f32_e32 v31, v27, v13
	v_add_f32_e32 v27, v29, v27
	v_fmac_f32_e32 v13, -0.5, v27
	v_sub_f32_e32 v26, v26, v28
	v_mov_b32_e32 v80, v13
	s_waitcnt vmcnt(1)
	v_add_f32_e32 v27, v24, v22
	v_fmac_f32_e32 v80, 0xbf5db3d7, v26
	v_fmac_f32_e32 v13, 0x3f5db3d7, v26
	v_add_f32_e32 v26, v22, v10
	v_fmac_f32_e32 v10, -0.5, v27
	v_add_f32_e32 v30, v28, v30
	;; [unrolled: 16-line block ×3, first 2 shown]
	v_sub_f32_e32 v23, v9, v21
	v_mov_b32_e32 v24, v6
	v_fmac_f32_e32 v24, 0x3f5db3d7, v23
	v_fmac_f32_e32 v6, 0xbf5db3d7, v23
	v_add_f32_e32 v23, v9, v7
	v_add_f32_e32 v9, v21, v9
	v_fmac_f32_e32 v7, -0.5, v9
	v_sub_f32_e32 v8, v8, v20
	v_mov_b32_e32 v86, v7
	v_add_f32_e32 v0, v66, v0
	v_fmac_f32_e32 v86, 0xbf5db3d7, v8
	v_fmac_f32_e32 v7, 0x3f5db3d7, v8
	v_mad_u32_u24 v8, v68, 12, 0
	s_load_dwordx2 s[2:3], s[2:3], 0x0
	v_add_f32_e32 v5, v62, v5
	ds_write2_b32 v8, v0, v34 offset1:1
	ds_write_b32 v8, v46 offset:8
	v_add_u32_e32 v46, 0x438, v8
	ds_write2_b32 v46, v5, v64 offset1:1
	ds_write_b32 v8, v44 offset:1088
	v_add_u32_e32 v44, 0x870, v8
	v_add_u32_e32 v87, 0xca8, v8
	;; [unrolled: 1-line block ×3, first 2 shown]
	v_add_f32_e32 v32, v50, v32
	ds_write2_b32 v44, v41, v61 offset1:1
	ds_write_b32 v8, v42 offset:2168
	ds_write2_b32 v87, v57, v58 offset1:1
	ds_write_b32 v8, v35 offset:3248
	;; [unrolled: 2-line block ×3, first 2 shown]
	ds_write_b32 v8, v32 offset:5400
	v_add_u32_e32 v18, 0x151c, v8
	ds_write2_b32 v18, v40, v14 offset1:1
	ds_write_b32 v8, v33 offset:6480
	v_add_u32_e32 v14, 0x1954, v8
	ds_write2_b32 v14, v49, v16 offset1:1
	ds_write_b32 v8, v30 offset:7560
	v_add_u32_e32 v16, 0x1d8c, v8
	v_lshl_add_u32 v0, v68, 2, 0
	v_add_f32_e32 v22, v20, v22
	ds_write2_b32 v16, v37, v12 offset1:1
	ds_write_b32 v8, v26 offset:8640
	v_add_u32_e32 v12, 0x21c4, v8
	v_add_u32_e32 v89, 0x25fc, v8
	;; [unrolled: 1-line block ×16, first 2 shown]
	s_movk_i32 s4, 0xab
	v_add_f32_e32 v56, v38, v48
	v_add_f32_e32 v79, v29, v31
	;; [unrolled: 1-line block ×4, first 2 shown]
	ds_write2_b32 v12, v28, v10 offset1:1
	ds_write_b32 v8, v22 offset:9720
	ds_write2_b32 v89, v24, v6 offset1:1
	s_waitcnt lgkmcnt(0)
	s_barrier
	ds_read2_b32 v[9:10], v0 offset1:90
	ds_read2_b32 v[5:6], v58 offset0:52 offset1:142
	ds_read2_b32 v[48:49], v65 offset0:28 offset1:118
	ds_read2_b32 v[20:21], v69 offset0:80 offset1:170
	ds_read2_b32 v[50:51], v61 offset0:56 offset1:146
	ds_read2_b32 v[22:23], v62 offset0:108 offset1:198
	ds_read2_b32 v[39:40], v70 offset0:84 offset1:174
	ds_read2_b32 v[24:25], v57 offset0:8 offset1:98
	ds_read2_b32 v[37:38], v64 offset0:112 offset1:202
	ds_read2_b32 v[26:27], v66 offset0:36 offset1:126
	ds_read2_b32 v[34:35], v63 offset0:104 offset1:194
	ds_read2_b32 v[32:33], v59 offset0:132 offset1:222
	ds_read2_b32 v[30:31], v67 offset0:160 offset1:250
	ds_read2_b32 v[28:29], v60 offset0:60 offset1:150
	ds_read2_b32 v[41:42], v71 offset0:88 offset1:178
	s_waitcnt lgkmcnt(0)
	s_barrier
	ds_write2_b32 v8, v72, v73 offset1:1
	ds_write_b32 v8, v47 offset:8
	ds_write2_b32 v46, v74, v76 offset1:1
	ds_write_b32 v8, v45 offset:1088
	;; [unrolled: 2-line block ×5, first 2 shown]
	ds_write_b32 v8, v52 offset:5400
	ds_write2_b32 v18, v53, v15 offset1:1
	ds_write_b32 v8, v56 offset:6480
	ds_write2_b32 v14, v75, v17 offset1:1
	;; [unrolled: 2-line block ×5, first 2 shown]
	v_mul_lo_u16_sdwa v7, v68, s4 dst_sel:DWORD dst_unused:UNUSED_PAD src0_sel:BYTE_0 src1_sel:DWORD
	v_lshrrev_b16_e32 v13, 9, v7
	v_mul_lo_u16_e32 v7, 3, v13
	v_sub_u16_e32 v14, v68, v7
	v_mov_b32_e32 v43, 9
	v_mul_u32_u24_sdwa v7, v14, v43 dst_sel:DWORD dst_unused:UNUSED_PAD src0_sel:BYTE_0 src1_sel:DWORD
	v_lshlrev_b32_e32 v7, 3, v7
	s_waitcnt lgkmcnt(0)
	s_barrier
	global_load_dwordx4 v[44:47], v7, s[12:13]
	global_load_dwordx4 v[72:75], v7, s[12:13] offset:16
	global_load_dwordx4 v[76:79], v7, s[12:13] offset:32
	;; [unrolled: 1-line block ×3, first 2 shown]
	v_add_u32_e32 v52, 0x5a, v68
	v_mul_lo_u16_sdwa v8, v52, s4 dst_sel:DWORD dst_unused:UNUSED_PAD src0_sel:BYTE_0 src1_sel:DWORD
	v_lshrrev_b16_e32 v11, 9, v8
	v_mul_lo_u16_e32 v8, 3, v11
	v_sub_u16_e32 v12, v52, v8
	v_mul_u32_u24_sdwa v8, v12, v43 dst_sel:DWORD dst_unused:UNUSED_PAD src0_sel:BYTE_0 src1_sel:DWORD
	v_lshlrev_b32_e32 v36, 3, v8
	global_load_dwordx4 v[84:87], v36, s[12:13]
	global_load_dwordx4 v[88:91], v36, s[12:13] offset:16
	global_load_dwordx2 v[54:55], v7, s[12:13] offset:64
	global_load_dwordx4 v[92:95], v36, s[12:13] offset:32
	ds_read2_b32 v[7:8], v58 offset0:52 offset1:142
	ds_read2_b32 v[103:104], v65 offset0:28 offset1:118
	;; [unrolled: 1-line block ×10, first 2 shown]
	v_add_u32_e32 v53, 0xb4, v68
	s_mov_b32 s4, 0xaaab
	global_load_dwordx4 v[96:99], v36, s[12:13] offset:48
	s_mov_b32 s6, 0x3f737871
	s_mov_b32 s7, 0x3f167918
	;; [unrolled: 1-line block ×3, first 2 shown]
	v_mul_u32_u24_e32 v13, 0x78, v13
	s_movk_i32 s8, 0x89
	s_waitcnt vmcnt(8) lgkmcnt(9)
	v_mul_f32_e32 v15, v8, v45
	v_fma_f32 v15, v6, v44, -v15
	v_mul_f32_e32 v16, v6, v45
	s_waitcnt lgkmcnt(8)
	v_mul_f32_e32 v6, v103, v47
	v_fmac_f32_e32 v16, v8, v44
	v_fma_f32 v44, v48, v46, -v6
	s_waitcnt vmcnt(7) lgkmcnt(7)
	v_mul_f32_e32 v6, v109, v73
	v_fma_f32 v19, v21, v72, -v6
	v_mul_f32_e32 v17, v21, v73
	s_waitcnt lgkmcnt(6)
	v_mul_f32_e32 v6, v110, v75
	v_fmac_f32_e32 v17, v109, v72
	v_fma_f32 v109, v50, v74, -v6
	s_waitcnt vmcnt(6) lgkmcnt(5)
	v_mul_f32_e32 v6, v113, v77
	v_fma_f32 v21, v23, v76, -v6
	v_mul_u32_u24_sdwa v6, v53, s4 dst_sel:DWORD dst_unused:UNUSED_PAD src0_sel:WORD_0 src1_sel:DWORD
	v_lshrrev_b32_e32 v6, 17, v6
	v_mul_lo_u16_e32 v8, 3, v6
	v_mul_f32_e32 v18, v23, v77
	v_sub_u16_e32 v8, v53, v8
	v_fmac_f32_e32 v18, v113, v76
	global_load_dwordx2 v[76:77], v36, s[12:13] offset:64
	v_mul_u32_u24_e32 v36, 9, v8
	v_mul_f32_e32 v56, v48, v47
	v_mul_f32_e32 v124, v50, v75
	s_waitcnt lgkmcnt(4)
	v_mul_f32_e32 v23, v114, v79
	v_lshlrev_b32_e32 v36, 3, v36
	v_fmac_f32_e32 v56, v103, v46
	v_fmac_f32_e32 v124, v110, v74
	global_load_dwordx4 v[72:75], v36, s[12:13] offset:16
	global_load_dwordx4 v[100:103], v36, s[12:13]
	v_fma_f32 v110, v39, v78, -v23
	v_mul_f32_e32 v113, v39, v79
	s_waitcnt vmcnt(8) lgkmcnt(3)
	v_mul_f32_e32 v23, v117, v81
	v_fmac_f32_e32 v113, v114, v78
	v_fma_f32 v114, v25, v80, -v23
	v_mul_f32_e32 v125, v25, v81
	s_waitcnt lgkmcnt(2)
	v_mul_f32_e32 v23, v118, v83
	v_fmac_f32_e32 v125, v117, v80
	v_fma_f32 v117, v37, v82, -v23
	v_mul_f32_e32 v83, v37, v83
	s_waitcnt vmcnt(7)
	v_mul_f32_e32 v23, v104, v87
	v_fmac_f32_e32 v83, v118, v82
	v_fma_f32 v118, v49, v86, -v23
	v_mul_f32_e32 v126, v49, v87
	global_load_dwordx4 v[46:49], v36, s[12:13] offset:32
	v_fmac_f32_e32 v126, v104, v86
	global_load_dwordx4 v[104:107], v36, s[12:13] offset:48
	s_waitcnt lgkmcnt(1)
	v_mul_f32_e32 v23, v120, v85
	v_fma_f32 v23, v34, v84, -v23
	v_mul_f32_e32 v25, v34, v85
	s_waitcnt vmcnt(8)
	v_mul_f32_e32 v34, v111, v91
	v_fmac_f32_e32 v25, v120, v84
	v_fma_f32 v120, v51, v90, -v34
	v_mul_f32_e32 v91, v51, v91
	global_load_dwordx2 v[50:51], v36, s[12:13] offset:64
	ds_read2_b32 v[36:37], v67 offset0:160 offset1:250
	s_waitcnt lgkmcnt(1)
	v_mul_f32_e32 v34, v122, v89
	v_fmac_f32_e32 v91, v111, v90
	v_fma_f32 v90, v32, v88, -v34
	v_mul_f32_e32 v45, v32, v89
	s_waitcnt vmcnt(7)
	v_mul_f32_e32 v32, v115, v95
	v_fma_f32 v111, v40, v94, -v32
	v_mul_f32_e32 v95, v40, v95
	ds_read2_b32 v[39:40], v60 offset0:60 offset1:150
	ds_read2_b32 v[80:81], v66 offset0:36 offset1:126
	s_waitcnt lgkmcnt(2)
	v_mul_f32_e32 v32, v36, v93
	v_fmac_f32_e32 v45, v122, v88
	v_fma_f32 v122, v30, v92, -v32
	v_mul_f32_e32 v30, v30, v93
	s_waitcnt vmcnt(6)
	v_mul_f32_e32 v32, v119, v99
	v_fmac_f32_e32 v30, v36, v92
	v_fma_f32 v92, v38, v98, -v32
	s_waitcnt lgkmcnt(1)
	v_mul_f32_e32 v32, v39, v97
	v_fmac_f32_e32 v95, v115, v94
	v_fma_f32 v94, v28, v96, -v32
	v_mul_f32_e32 v28, v28, v97
	v_mul_f32_e32 v93, v38, v99
	v_fmac_f32_e32 v28, v39, v96
	ds_read2_b32 v[38:39], v71 offset0:88 offset1:178
	s_waitcnt lgkmcnt(1)
	v_mul_f32_e32 v32, v81, v55
	v_fma_f32 v32, v27, v54, -v32
	v_mul_f32_e32 v27, v27, v55
	v_fmac_f32_e32 v27, v81, v54
	ds_read2_b32 v[54:55], v0 offset1:90
	s_mov_b32 s4, 0xbf167918
	v_fmac_f32_e32 v93, v119, v98
	s_waitcnt vmcnt(0) lgkmcnt(0)
	s_barrier
	v_mul_u32_u24_e32 v6, 0x78, v6
	v_lshlrev_b32_e32 v8, 2, v8
	v_add3_u32 v8, 0, v6, v8
	v_mul_f32_e32 v34, v38, v77
	v_mul_f32_e32 v97, v41, v77
	v_fmac_f32_e32 v97, v38, v76
	v_sub_f32_e32 v38, v117, v110
	v_fma_f32 v96, v41, v76, -v34
	v_mul_f32_e32 v82, v22, v75
	v_mul_f32_e32 v36, v108, v103
	v_fma_f32 v85, v20, v102, -v36
	v_mul_f32_e32 v81, v20, v103
	v_mul_f32_e32 v20, v123, v73
	v_fma_f32 v77, v33, v72, -v20
	v_mul_f32_e32 v20, v112, v75
	v_fma_f32 v86, v22, v74, -v20
	v_fmac_f32_e32 v82, v112, v74
	v_mul_f32_e32 v33, v33, v73
	v_fmac_f32_e32 v33, v123, v72
	v_mul_f32_e32 v34, v121, v101
	v_fma_f32 v34, v35, v100, -v34
	v_mul_f32_e32 v35, v35, v101
	v_fmac_f32_e32 v35, v121, v100
	v_fmac_f32_e32 v81, v108, v102
	v_mul_f32_e32 v20, v37, v47
	v_fma_f32 v78, v31, v46, -v20
	v_mul_f32_e32 v20, v116, v49
	v_fma_f32 v88, v24, v48, -v20
	;; [unrolled: 2-line block ×4, first 2 shown]
	v_mul_f32_e32 v87, v26, v107
	v_fmac_f32_e32 v87, v80, v106
	v_mul_f32_e32 v20, v39, v51
	v_fma_f32 v80, v42, v50, -v20
	v_add_f32_e32 v20, v9, v44
	v_add_f32_e32 v20, v20, v109
	;; [unrolled: 1-line block ×5, first 2 shown]
	v_mul_f32_e32 v84, v24, v49
	v_fma_f32 v24, -0.5, v20, v9
	v_mul_f32_e32 v36, v31, v47
	v_sub_f32_e32 v20, v56, v83
	v_mov_b32_e32 v26, v24
	v_fmac_f32_e32 v36, v37, v46
	v_mul_f32_e32 v37, v29, v105
	v_fmac_f32_e32 v26, 0x3f737871, v20
	v_sub_f32_e32 v29, v124, v113
	v_sub_f32_e32 v31, v44, v109
	v_fmac_f32_e32 v24, 0xbf737871, v20
	v_fmac_f32_e32 v26, 0x3f167918, v29
	v_add_f32_e32 v31, v31, v38
	v_fmac_f32_e32 v24, 0xbf167918, v29
	v_mul_f32_e32 v76, v42, v51
	v_fmac_f32_e32 v26, 0x3e9e377a, v31
	v_fmac_f32_e32 v24, 0x3e9e377a, v31
	v_add_f32_e32 v31, v44, v117
	v_fmac_f32_e32 v76, v39, v50
	v_fma_f32 v39, -0.5, v31, v9
	v_fmac_f32_e32 v37, v40, v104
	v_mov_b32_e32 v40, v39
	v_fmac_f32_e32 v40, 0xbf737871, v29
	v_sub_f32_e32 v9, v109, v44
	v_sub_f32_e32 v31, v110, v117
	v_fmac_f32_e32 v39, 0x3f737871, v29
	v_fmac_f32_e32 v40, 0x3f167918, v20
	v_add_f32_e32 v9, v9, v31
	v_fmac_f32_e32 v39, 0xbf167918, v20
	v_fmac_f32_e32 v40, 0x3e9e377a, v9
	;; [unrolled: 1-line block ×3, first 2 shown]
	v_add_f32_e32 v9, v54, v56
	v_add_f32_e32 v9, v9, v124
	;; [unrolled: 1-line block ×5, first 2 shown]
	v_fma_f32 v41, -0.5, v9, v54
	v_sub_f32_e32 v9, v44, v117
	v_mov_b32_e32 v42, v41
	v_fmac_f32_e32 v42, 0xbf737871, v9
	v_sub_f32_e32 v20, v109, v110
	v_sub_f32_e32 v31, v56, v124
	v_sub_f32_e32 v38, v83, v113
	v_fmac_f32_e32 v41, 0x3f737871, v9
	v_fmac_f32_e32 v42, 0xbf167918, v20
	v_add_f32_e32 v31, v31, v38
	v_fmac_f32_e32 v41, 0x3f167918, v20
	v_fmac_f32_e32 v42, 0x3e9e377a, v31
	;; [unrolled: 1-line block ×3, first 2 shown]
	v_add_f32_e32 v31, v56, v83
	v_fma_f32 v46, -0.5, v31, v54
	v_mov_b32_e32 v47, v46
	v_fmac_f32_e32 v47, 0x3f737871, v20
	v_fmac_f32_e32 v46, 0xbf737871, v20
	;; [unrolled: 1-line block ×4, first 2 shown]
	v_add_f32_e32 v9, v15, v19
	v_add_f32_e32 v9, v9, v21
	;; [unrolled: 1-line block ×3, first 2 shown]
	v_sub_f32_e32 v31, v124, v56
	v_sub_f32_e32 v38, v113, v83
	v_add_f32_e32 v44, v9, v32
	v_add_f32_e32 v9, v21, v114
	;; [unrolled: 1-line block ×3, first 2 shown]
	v_fma_f32 v38, -0.5, v9, v15
	v_fmac_f32_e32 v84, v116, v48
	v_sub_f32_e32 v9, v17, v27
	v_mov_b32_e32 v48, v38
	v_fmac_f32_e32 v47, 0x3e9e377a, v31
	v_fmac_f32_e32 v46, 0x3e9e377a, v31
	;; [unrolled: 1-line block ×3, first 2 shown]
	v_sub_f32_e32 v20, v18, v125
	v_sub_f32_e32 v31, v19, v21
	;; [unrolled: 1-line block ×3, first 2 shown]
	v_fmac_f32_e32 v38, 0xbf737871, v9
	v_fmac_f32_e32 v48, 0x3f167918, v20
	v_add_f32_e32 v31, v31, v49
	v_fmac_f32_e32 v38, 0xbf167918, v20
	v_fmac_f32_e32 v48, 0x3e9e377a, v31
	;; [unrolled: 1-line block ×3, first 2 shown]
	v_add_f32_e32 v31, v19, v32
	v_fmac_f32_e32 v15, -0.5, v31
	v_mov_b32_e32 v49, v15
	v_fmac_f32_e32 v49, 0xbf737871, v20
	v_fmac_f32_e32 v15, 0x3f737871, v20
	;; [unrolled: 1-line block ×4, first 2 shown]
	v_add_f32_e32 v9, v16, v17
	v_add_f32_e32 v9, v9, v18
	v_sub_f32_e32 v31, v21, v19
	v_sub_f32_e32 v50, v114, v32
	v_add_f32_e32 v9, v9, v125
	v_add_f32_e32 v31, v31, v50
	;; [unrolled: 1-line block ×4, first 2 shown]
	v_fma_f32 v51, -0.5, v9, v16
	v_sub_f32_e32 v9, v19, v32
	v_mov_b32_e32 v19, v51
	v_fmac_f32_e32 v49, 0x3e9e377a, v31
	v_fmac_f32_e32 v15, 0x3e9e377a, v31
	;; [unrolled: 1-line block ×3, first 2 shown]
	v_sub_f32_e32 v20, v21, v114
	v_sub_f32_e32 v21, v17, v18
	;; [unrolled: 1-line block ×3, first 2 shown]
	v_fmac_f32_e32 v51, 0x3f737871, v9
	v_fmac_f32_e32 v19, 0xbf167918, v20
	v_add_f32_e32 v21, v21, v31
	v_fmac_f32_e32 v51, 0x3f167918, v20
	v_fmac_f32_e32 v19, 0x3e9e377a, v21
	v_fmac_f32_e32 v51, 0x3e9e377a, v21
	v_add_f32_e32 v21, v17, v27
	v_fmac_f32_e32 v16, -0.5, v21
	v_mov_b32_e32 v54, v16
	v_fmac_f32_e32 v54, 0x3f737871, v20
	v_sub_f32_e32 v17, v18, v17
	v_sub_f32_e32 v18, v125, v27
	v_fmac_f32_e32 v16, 0xbf737871, v20
	v_fmac_f32_e32 v54, 0xbf167918, v9
	v_add_f32_e32 v17, v17, v18
	v_fmac_f32_e32 v16, 0x3f167918, v9
	v_fmac_f32_e32 v54, 0x3e9e377a, v17
	;; [unrolled: 1-line block ×3, first 2 shown]
	v_mul_f32_e32 v17, 0x3f167918, v19
	v_fmac_f32_e32 v17, 0x3f4f1bbd, v48
	v_mul_f32_e32 v48, 0xbf167918, v48
	v_add_f32_e32 v31, v22, v44
	v_mul_f32_e32 v9, 0x3e9e377a, v15
	v_fmac_f32_e32 v48, 0x3f4f1bbd, v19
	v_sub_f32_e32 v19, v22, v44
	v_add_f32_e32 v22, v10, v118
	v_mul_f32_e32 v18, 0x3f737871, v54
	v_fma_f32 v27, v16, s6, -v9
	v_mul_f32_e32 v9, 0x3f4f1bbd, v38
	v_add_f32_e32 v22, v22, v120
	v_fmac_f32_e32 v18, 0x3e9e377a, v49
	v_fma_f32 v56, v51, s7, -v9
	v_mul_f32_e32 v49, 0xbf737871, v49
	v_mul_f32_e32 v16, 0x3e9e377a, v16
	v_add_f32_e32 v22, v22, v111
	v_add_f32_e32 v9, v24, v56
	v_fmac_f32_e32 v49, 0x3e9e377a, v54
	v_fma_f32 v54, v15, s5, -v16
	v_mul_f32_e32 v15, 0x3f4f1bbd, v51
	v_sub_f32_e32 v16, v24, v56
	v_add_f32_e32 v24, v22, v92
	v_add_f32_e32 v22, v120, v111
	;; [unrolled: 1-line block ×3, first 2 shown]
	v_fma_f32 v51, v38, s4, -v15
	v_sub_f32_e32 v44, v29, v50
	v_fma_f32 v50, -0.5, v22, v10
	v_add_f32_e32 v38, v41, v51
	v_sub_f32_e32 v41, v41, v51
	v_sub_f32_e32 v22, v126, v93
	v_mov_b32_e32 v51, v50
	v_add_f32_e32 v32, v26, v17
	v_add_f32_e32 v21, v39, v27
	v_sub_f32_e32 v17, v26, v17
	v_sub_f32_e32 v15, v39, v27
	v_fmac_f32_e32 v51, 0x3f737871, v22
	v_sub_f32_e32 v26, v91, v95
	v_sub_f32_e32 v27, v118, v120
	;; [unrolled: 1-line block ×3, first 2 shown]
	v_fmac_f32_e32 v50, 0xbf737871, v22
	v_fmac_f32_e32 v51, 0x3f167918, v26
	v_add_f32_e32 v27, v27, v29
	v_fmac_f32_e32 v50, 0xbf167918, v26
	v_fmac_f32_e32 v51, 0x3e9e377a, v27
	;; [unrolled: 1-line block ×3, first 2 shown]
	v_add_f32_e32 v27, v118, v92
	v_fmac_f32_e32 v10, -0.5, v27
	v_add_f32_e32 v73, v46, v54
	v_sub_f32_e32 v39, v46, v54
	v_mov_b32_e32 v54, v10
	v_fmac_f32_e32 v54, 0xbf737871, v26
	v_fmac_f32_e32 v10, 0x3f737871, v26
	v_fmac_f32_e32 v54, 0x3f167918, v22
	v_fmac_f32_e32 v10, 0xbf167918, v22
	v_add_f32_e32 v22, v55, v126
	v_add_f32_e32 v22, v22, v91
	;; [unrolled: 1-line block ×5, first 2 shown]
	v_sub_f32_e32 v27, v120, v118
	v_sub_f32_e32 v29, v111, v92
	v_fma_f32 v83, -0.5, v22, v55
	v_add_f32_e32 v27, v27, v29
	v_sub_f32_e32 v22, v118, v92
	v_mov_b32_e32 v92, v83
	v_fmac_f32_e32 v54, 0x3e9e377a, v27
	v_fmac_f32_e32 v10, 0x3e9e377a, v27
	;; [unrolled: 1-line block ×3, first 2 shown]
	v_sub_f32_e32 v26, v120, v111
	v_sub_f32_e32 v27, v126, v91
	;; [unrolled: 1-line block ×3, first 2 shown]
	v_fmac_f32_e32 v83, 0x3f737871, v22
	v_fmac_f32_e32 v92, 0xbf167918, v26
	v_add_f32_e32 v27, v27, v29
	v_fmac_f32_e32 v83, 0x3f167918, v26
	v_fmac_f32_e32 v92, 0x3e9e377a, v27
	;; [unrolled: 1-line block ×3, first 2 shown]
	v_add_f32_e32 v27, v126, v93
	v_fmac_f32_e32 v55, -0.5, v27
	v_mov_b32_e32 v98, v55
	v_fmac_f32_e32 v98, 0x3f737871, v26
	v_fmac_f32_e32 v55, 0xbf737871, v26
	;; [unrolled: 1-line block ×4, first 2 shown]
	v_add_f32_e32 v22, v23, v90
	v_add_f32_e32 v22, v22, v122
	;; [unrolled: 1-line block ×8, first 2 shown]
	v_sub_f32_e32 v18, v40, v18
	v_sub_f32_e32 v40, v42, v48
	;; [unrolled: 1-line block ×5, first 2 shown]
	v_fma_f32 v49, -0.5, v22, v23
	v_add_f32_e32 v27, v27, v29
	v_sub_f32_e32 v22, v45, v97
	v_mov_b32_e32 v46, v49
	v_fmac_f32_e32 v98, 0x3e9e377a, v27
	v_fmac_f32_e32 v55, 0x3e9e377a, v27
	;; [unrolled: 1-line block ×3, first 2 shown]
	v_sub_f32_e32 v27, v30, v28
	v_sub_f32_e32 v29, v90, v122
	;; [unrolled: 1-line block ×3, first 2 shown]
	v_fmac_f32_e32 v49, 0xbf737871, v22
	v_fmac_f32_e32 v46, 0x3f167918, v27
	v_add_f32_e32 v29, v29, v47
	v_fmac_f32_e32 v49, 0xbf167918, v27
	v_fmac_f32_e32 v46, 0x3e9e377a, v29
	;; [unrolled: 1-line block ×3, first 2 shown]
	v_add_f32_e32 v29, v90, v96
	v_fmac_f32_e32 v23, -0.5, v29
	v_mov_b32_e32 v47, v23
	v_fmac_f32_e32 v47, 0xbf737871, v27
	v_fmac_f32_e32 v23, 0x3f737871, v27
	v_fmac_f32_e32 v47, 0x3f167918, v22
	v_fmac_f32_e32 v23, 0xbf167918, v22
	v_add_f32_e32 v22, v25, v45
	v_add_f32_e32 v22, v22, v30
	;; [unrolled: 1-line block ×5, first 2 shown]
	v_sub_f32_e32 v29, v122, v90
	v_sub_f32_e32 v48, v94, v96
	v_fma_f32 v93, -0.5, v22, v25
	v_add_f32_e32 v29, v29, v48
	v_sub_f32_e32 v22, v90, v96
	v_mov_b32_e32 v48, v93
	v_fmac_f32_e32 v47, 0x3e9e377a, v29
	v_fmac_f32_e32 v23, 0x3e9e377a, v29
	;; [unrolled: 1-line block ×3, first 2 shown]
	v_sub_f32_e32 v27, v122, v94
	v_sub_f32_e32 v29, v45, v30
	;; [unrolled: 1-line block ×3, first 2 shown]
	v_fmac_f32_e32 v93, 0x3f737871, v22
	v_fmac_f32_e32 v48, 0xbf167918, v27
	v_add_f32_e32 v29, v29, v90
	v_fmac_f32_e32 v93, 0x3f167918, v27
	v_fmac_f32_e32 v48, 0x3e9e377a, v29
	;; [unrolled: 1-line block ×3, first 2 shown]
	v_add_f32_e32 v29, v45, v97
	v_fmac_f32_e32 v25, -0.5, v29
	v_mov_b32_e32 v90, v25
	v_sub_f32_e32 v29, v30, v45
	v_sub_f32_e32 v28, v28, v97
	v_fmac_f32_e32 v25, 0xbf737871, v27
	v_fmac_f32_e32 v90, 0x3f737871, v27
	v_add_f32_e32 v28, v29, v28
	v_fmac_f32_e32 v25, 0x3f167918, v22
	v_fmac_f32_e32 v90, 0xbf167918, v22
	;; [unrolled: 1-line block ×3, first 2 shown]
	v_mul_f32_e32 v22, 0x3e9e377a, v23
	v_fmac_f32_e32 v90, 0x3e9e377a, v28
	v_fma_f32 v96, v25, s6, -v22
	v_mul_f32_e32 v100, 0xbf737871, v47
	v_mul_f32_e32 v25, 0x3e9e377a, v25
	;; [unrolled: 1-line block ×4, first 2 shown]
	v_fmac_f32_e32 v100, 0x3e9e377a, v90
	v_fma_f32 v90, v23, s5, -v25
	v_mul_f32_e32 v94, 0x3f167918, v48
	v_mul_f32_e32 v22, 0x3f4f1bbd, v49
	v_fmac_f32_e32 v99, 0x3f4f1bbd, v48
	v_add_f32_e32 v48, v55, v90
	v_sub_f32_e32 v55, v55, v90
	v_add_f32_e32 v90, v86, v88
	v_fmac_f32_e32 v94, 0x3f4f1bbd, v46
	v_fma_f32 v97, v93, s7, -v22
	v_mul_f32_e32 v23, 0x3f4f1bbd, v93
	v_fma_f32 v90, -0.5, v90, v5
	v_add_f32_e32 v29, v24, v26
	v_add_f32_e32 v30, v51, v94
	v_fmac_f32_e32 v95, 0x3e9e377a, v47
	v_add_f32_e32 v22, v50, v97
	v_add_f32_e32 v45, v56, v91
	;; [unrolled: 1-line block ×3, first 2 shown]
	v_fma_f32 v93, v49, s4, -v23
	v_sub_f32_e32 v26, v24, v26
	v_sub_f32_e32 v23, v51, v94
	;; [unrolled: 1-line block ×6, first 2 shown]
	v_mov_b32_e32 v92, v90
	v_add_f32_e32 v27, v54, v95
	v_add_f32_e32 v49, v83, v93
	v_sub_f32_e32 v25, v54, v95
	v_sub_f32_e32 v56, v83, v93
	v_fmac_f32_e32 v92, 0x3f737871, v91
	v_sub_f32_e32 v93, v82, v84
	v_sub_f32_e32 v94, v85, v86
	;; [unrolled: 1-line block ×3, first 2 shown]
	v_fmac_f32_e32 v90, 0xbf737871, v91
	v_fmac_f32_e32 v92, 0x3f167918, v93
	v_add_f32_e32 v94, v94, v95
	v_fmac_f32_e32 v90, 0xbf167918, v93
	v_fmac_f32_e32 v92, 0x3e9e377a, v94
	;; [unrolled: 1-line block ×3, first 2 shown]
	v_add_f32_e32 v94, v85, v89
	v_add_f32_e32 v83, v5, v85
	v_fmac_f32_e32 v5, -0.5, v94
	v_mov_b32_e32 v94, v5
	v_add_f32_e32 v28, v10, v96
	v_sub_f32_e32 v10, v10, v96
	v_fmac_f32_e32 v94, 0xbf737871, v93
	v_sub_f32_e32 v95, v86, v85
	v_sub_f32_e32 v96, v88, v89
	v_fmac_f32_e32 v5, 0x3f737871, v93
	v_add_f32_e32 v93, v82, v84
	v_add_f32_e32 v83, v83, v86
	v_fmac_f32_e32 v94, 0x3f167918, v91
	v_add_f32_e32 v95, v95, v96
	v_fmac_f32_e32 v5, 0xbf167918, v91
	v_fma_f32 v93, -0.5, v93, v7
	v_add_f32_e32 v83, v83, v88
	v_fmac_f32_e32 v94, 0x3e9e377a, v95
	v_fmac_f32_e32 v5, 0x3e9e377a, v95
	v_sub_f32_e32 v85, v85, v89
	v_mov_b32_e32 v95, v93
	v_add_f32_e32 v83, v83, v89
	v_fmac_f32_e32 v95, 0xbf737871, v85
	v_sub_f32_e32 v86, v86, v88
	v_sub_f32_e32 v88, v81, v82
	;; [unrolled: 1-line block ×3, first 2 shown]
	v_fmac_f32_e32 v93, 0x3f737871, v85
	v_fmac_f32_e32 v95, 0xbf167918, v86
	v_add_f32_e32 v88, v88, v89
	v_fmac_f32_e32 v93, 0x3f167918, v86
	v_add_f32_e32 v91, v7, v81
	v_fmac_f32_e32 v95, 0x3e9e377a, v88
	v_fmac_f32_e32 v93, 0x3e9e377a, v88
	v_add_f32_e32 v88, v81, v87
	v_add_f32_e32 v91, v91, v82
	v_fmac_f32_e32 v7, -0.5, v88
	v_sub_f32_e32 v81, v82, v81
	v_sub_f32_e32 v82, v84, v87
	v_mov_b32_e32 v96, v7
	v_add_f32_e32 v81, v81, v82
	v_add_f32_e32 v82, v78, v79
	v_fmac_f32_e32 v96, 0x3f737871, v86
	v_fmac_f32_e32 v7, 0xbf737871, v86
	v_fma_f32 v82, -0.5, v82, v34
	v_add_f32_e32 v91, v91, v84
	v_fmac_f32_e32 v96, 0xbf167918, v85
	v_fmac_f32_e32 v7, 0x3f167918, v85
	v_sub_f32_e32 v84, v33, v76
	v_mov_b32_e32 v85, v82
	v_add_f32_e32 v91, v91, v87
	v_fmac_f32_e32 v85, 0x3f737871, v84
	v_sub_f32_e32 v86, v36, v37
	v_sub_f32_e32 v87, v77, v78
	;; [unrolled: 1-line block ×3, first 2 shown]
	v_fmac_f32_e32 v82, 0xbf737871, v84
	v_fmac_f32_e32 v85, 0x3f167918, v86
	v_add_f32_e32 v87, v87, v88
	v_fmac_f32_e32 v82, 0xbf167918, v86
	v_fmac_f32_e32 v85, 0x3e9e377a, v87
	;; [unrolled: 1-line block ×3, first 2 shown]
	v_add_f32_e32 v87, v77, v80
	v_fmac_f32_e32 v96, 0x3e9e377a, v81
	v_fmac_f32_e32 v7, 0x3e9e377a, v81
	v_add_f32_e32 v81, v34, v77
	v_fmac_f32_e32 v34, -0.5, v87
	v_mov_b32_e32 v97, v34
	v_add_f32_e32 v81, v81, v78
	v_fmac_f32_e32 v97, 0xbf737871, v86
	v_fmac_f32_e32 v34, 0x3f737871, v86
	v_add_f32_e32 v86, v36, v37
	v_add_f32_e32 v81, v81, v79
	v_sub_f32_e32 v87, v78, v77
	v_sub_f32_e32 v88, v79, v80
	v_fma_f32 v86, -0.5, v86, v35
	v_add_f32_e32 v81, v81, v80
	v_fmac_f32_e32 v97, 0x3f167918, v84
	v_add_f32_e32 v87, v87, v88
	v_fmac_f32_e32 v34, 0xbf167918, v84
	v_sub_f32_e32 v77, v77, v80
	v_mov_b32_e32 v80, v86
	v_fmac_f32_e32 v97, 0x3e9e377a, v87
	v_fmac_f32_e32 v34, 0x3e9e377a, v87
	;; [unrolled: 1-line block ×3, first 2 shown]
	v_sub_f32_e32 v78, v78, v79
	v_sub_f32_e32 v79, v33, v36
	;; [unrolled: 1-line block ×3, first 2 shown]
	v_fmac_f32_e32 v86, 0x3f737871, v77
	v_fmac_f32_e32 v80, 0xbf167918, v78
	v_add_f32_e32 v79, v79, v87
	v_fmac_f32_e32 v86, 0x3f167918, v78
	v_fmac_f32_e32 v80, 0x3e9e377a, v79
	;; [unrolled: 1-line block ×3, first 2 shown]
	v_add_f32_e32 v79, v33, v76
	v_add_f32_e32 v84, v35, v33
	v_fmac_f32_e32 v35, -0.5, v79
	v_mov_b32_e32 v79, v35
	v_add_f32_e32 v84, v84, v36
	v_fmac_f32_e32 v79, 0x3f737871, v78
	v_sub_f32_e32 v33, v36, v33
	v_sub_f32_e32 v36, v37, v76
	v_fmac_f32_e32 v35, 0xbf737871, v78
	v_fmac_f32_e32 v79, 0xbf167918, v77
	v_add_f32_e32 v33, v33, v36
	v_fmac_f32_e32 v35, 0x3f167918, v77
	v_fmac_f32_e32 v79, 0x3e9e377a, v33
	;; [unrolled: 1-line block ×3, first 2 shown]
	v_mul_f32_e32 v33, 0x3e9e377a, v34
	v_add_f32_e32 v84, v84, v37
	v_mul_f32_e32 v37, 0x3f167918, v80
	v_fma_f32 v99, v35, s6, -v33
	v_mul_f32_e32 v35, 0x3e9e377a, v35
	v_fmac_f32_e32 v37, 0x3f4f1bbd, v85
	v_fma_f32 v101, v34, s5, -v35
	v_mul_f32_e32 v34, 0x3f4f1bbd, v86
	v_add_f32_e32 v89, v92, v37
	v_mul_f32_e32 v85, 0xbf167918, v85
	v_fma_f32 v102, v82, s4, -v34
	v_sub_f32_e32 v34, v92, v37
	v_mov_b32_e32 v37, 2
	v_fmac_f32_e32 v85, 0x3f4f1bbd, v80
	v_lshlrev_b32_sdwa v14, v37, v14 dst_sel:DWORD dst_unused:UNUSED_PAD src0_sel:DWORD src1_sel:BYTE_0
	v_add_f32_e32 v47, v98, v100
	v_sub_f32_e32 v54, v98, v100
	v_mul_f32_e32 v98, 0x3f737871, v79
	v_mul_f32_e32 v33, 0x3f4f1bbd, v82
	v_add_f32_e32 v77, v95, v85
	v_sub_f32_e32 v82, v95, v85
	v_add3_u32 v85, 0, v13, v14
	v_add_f32_e32 v84, v84, v76
	v_fmac_f32_e32 v98, 0x3e9e377a, v97
	v_fma_f32 v100, v86, s7, -v33
	v_mul_f32_e32 v97, 0xbf737871, v97
	ds_write2_b32 v85, v31, v32 offset1:3
	ds_write2_b32 v85, v20, v21 offset0:6 offset1:9
	ds_write2_b32 v85, v9, v19 offset0:12 offset1:15
	;; [unrolled: 1-line block ×4, first 2 shown]
	v_mul_u32_u24_e32 v9, 0x78, v11
	v_lshlrev_b32_sdwa v11, v37, v12 dst_sel:DWORD dst_unused:UNUSED_PAD src0_sel:DWORD src1_sel:BYTE_0
	v_add_f32_e32 v87, v83, v81
	v_add_f32_e32 v36, v94, v98
	;; [unrolled: 1-line block ×5, first 2 shown]
	v_fmac_f32_e32 v97, 0x3e9e377a, v79
	v_add_f32_e32 v79, v7, v101
	v_sub_f32_e32 v86, v83, v81
	v_sub_f32_e32 v35, v94, v98
	;; [unrolled: 1-line block ×5, first 2 shown]
	v_add3_u32 v91, 0, v9, v11
	v_add_f32_e32 v78, v96, v97
	v_add_f32_e32 v80, v93, v102
	v_sub_f32_e32 v90, v90, v100
	v_sub_f32_e32 v83, v96, v97
	;; [unrolled: 1-line block ×3, first 2 shown]
	ds_write2_b32 v91, v29, v30 offset1:3
	ds_write2_b32 v91, v27, v28 offset0:6 offset1:9
	ds_write2_b32 v91, v22, v26 offset0:12 offset1:15
	;; [unrolled: 1-line block ×4, first 2 shown]
	ds_write2_b32 v8, v87, v89 offset1:3
	ds_write2_b32 v8, v36, v88 offset0:6 offset1:9
	ds_write2_b32 v8, v33, v86 offset0:12 offset1:15
	;; [unrolled: 1-line block ×4, first 2 shown]
	s_waitcnt lgkmcnt(0)
	s_barrier
	ds_read2_b32 v[9:10], v0 offset1:90
	ds_read2_b32 v[5:6], v58 offset0:52 offset1:142
	ds_read2_b32 v[35:36], v65 offset0:28 offset1:118
	;; [unrolled: 1-line block ×14, first 2 shown]
	s_waitcnt lgkmcnt(0)
	s_barrier
	ds_write2_b32 v85, v74, v75 offset1:3
	ds_write2_b32 v85, v72, v73 offset0:6 offset1:9
	ds_write2_b32 v85, v38, v44 offset0:12 offset1:15
	ds_write2_b32 v85, v40, v42 offset0:18 offset1:21
	ds_write2_b32 v85, v39, v41 offset0:24 offset1:27
	ds_write2_b32 v91, v45, v46 offset1:3
	ds_write2_b32 v91, v47, v48 offset0:6 offset1:9
	ds_write2_b32 v91, v49, v50 offset0:12 offset1:15
	ds_write2_b32 v91, v51, v54 offset0:18 offset1:21
	ds_write2_b32 v91, v55, v56 offset0:24 offset1:27
	;; [unrolled: 5-line block ×3, first 2 shown]
	v_mul_lo_u16_sdwa v7, v68, s8 dst_sel:DWORD dst_unused:UNUSED_PAD src0_sel:BYTE_0 src1_sel:DWORD
	v_lshrrev_b16_e32 v40, 12, v7
	v_mul_lo_u16_e32 v7, 30, v40
	v_sub_u16_e32 v41, v68, v7
	v_mul_u32_u24_sdwa v7, v41, v43 dst_sel:DWORD dst_unused:UNUSED_PAD src0_sel:BYTE_0 src1_sel:DWORD
	v_lshlrev_b32_e32 v7, 3, v7
	s_waitcnt lgkmcnt(0)
	s_barrier
	global_load_dwordx4 v[44:47], v7, s[12:13] offset:216
	global_load_dwordx4 v[48:51], v7, s[12:13] offset:232
	;; [unrolled: 1-line block ×4, first 2 shown]
	v_mul_lo_u16_sdwa v8, v52, s8 dst_sel:DWORD dst_unused:UNUSED_PAD src0_sel:BYTE_0 src1_sel:DWORD
	v_lshrrev_b16_e32 v39, 12, v8
	v_mul_lo_u16_e32 v8, 30, v39
	v_sub_u16_e32 v38, v52, v8
	v_mul_u32_u24_sdwa v8, v38, v43 dst_sel:DWORD dst_unused:UNUSED_PAD src0_sel:BYTE_0 src1_sel:DWORD
	v_lshlrev_b32_e32 v56, 3, v8
	global_load_dwordx4 v[80:83], v56, s[12:13] offset:216
	global_load_dwordx4 v[84:87], v56, s[12:13] offset:232
	global_load_dwordx2 v[54:55], v7, s[12:13] offset:280
	global_load_dwordx4 v[88:91], v56, s[12:13] offset:248
	ds_read2_b32 v[7:8], v58 offset0:52 offset1:142
	ds_read2_b32 v[95:96], v65 offset0:28 offset1:118
	;; [unrolled: 1-line block ×10, first 2 shown]
	s_mov_b32 s8, 0x8889
	v_mul_u32_u24_e32 v40, 0x4b0, v40
	v_lshlrev_b32_sdwa v41, v37, v41 dst_sel:DWORD dst_unused:UNUSED_PAD src0_sel:DWORD src1_sel:BYTE_0
	s_waitcnt vmcnt(7) lgkmcnt(9)
	v_mul_f32_e32 v42, v8, v45
	v_fma_f32 v42, v6, v44, -v42
	v_mul_f32_e32 v43, v6, v45
	s_waitcnt lgkmcnt(8)
	v_mul_f32_e32 v6, v95, v47
	v_fma_f32 v116, v35, v46, -v6
	v_mul_f32_e32 v117, v35, v47
	s_waitcnt vmcnt(6) lgkmcnt(7)
	v_mul_f32_e32 v6, v101, v49
	v_fmac_f32_e32 v43, v8, v44
	v_fmac_f32_e32 v117, v95, v46
	v_fma_f32 v35, v24, v48, -v6
	s_waitcnt lgkmcnt(6)
	v_mul_f32_e32 v6, v102, v51
	global_load_dwordx4 v[44:47], v56, s[12:13] offset:264
	v_fma_f32 v118, v33, v50, -v6
	s_waitcnt vmcnt(6) lgkmcnt(5)
	v_mul_f32_e32 v6, v105, v73
	v_mul_f32_e32 v119, v33, v51
	v_fma_f32 v33, v20, v72, -v6
	v_mul_u32_u24_sdwa v6, v53, s8 dst_sel:DWORD dst_unused:UNUSED_PAD src0_sel:WORD_0 src1_sel:DWORD
	v_lshrrev_b32_e32 v6, 20, v6
	v_mul_lo_u16_e32 v8, 30, v6
	v_mul_f32_e32 v24, v24, v49
	v_sub_u16_e32 v8, v53, v8
	v_fmac_f32_e32 v24, v101, v48
	v_mul_u32_u24_e32 v48, 9, v8
	v_fmac_f32_e32 v119, v102, v50
	global_load_dwordx2 v[101:102], v56, s[12:13] offset:280
	v_lshlrev_b32_e32 v56, 3, v48
	v_mul_f32_e32 v20, v20, v73
	global_load_dwordx4 v[92:95], v56, s[12:13] offset:232
	global_load_dwordx4 v[48:51], v56, s[12:13] offset:216
	v_fmac_f32_e32 v20, v105, v72
	s_waitcnt lgkmcnt(4)
	v_mul_f32_e32 v72, v106, v75
	v_fma_f32 v120, v31, v74, -v72
	v_mul_f32_e32 v121, v31, v75
	s_waitcnt vmcnt(8) lgkmcnt(3)
	v_mul_f32_e32 v31, v109, v77
	v_fma_f32 v122, v16, v76, -v31
	v_mul_f32_e32 v123, v16, v77
	s_waitcnt lgkmcnt(2)
	v_mul_f32_e32 v16, v110, v79
	v_fmac_f32_e32 v121, v106, v74
	v_fmac_f32_e32 v123, v109, v76
	v_fma_f32 v109, v29, v78, -v16
	v_mul_f32_e32 v124, v29, v79
	s_waitcnt vmcnt(7)
	v_mul_f32_e32 v16, v96, v83
	global_load_dwordx4 v[72:75], v56, s[12:13] offset:248
	v_fmac_f32_e32 v124, v110, v78
	v_fma_f32 v110, v36, v82, -v16
	v_mul_f32_e32 v36, v36, v83
	v_fmac_f32_e32 v36, v96, v82
	global_load_dwordx4 v[96:99], v56, s[12:13] offset:264
	global_load_dwordx2 v[105:106], v56, s[12:13] offset:280
	ds_read2_b32 v[78:79], v67 offset0:160 offset1:250
	s_waitcnt lgkmcnt(2)
	v_mul_f32_e32 v16, v112, v81
	v_fma_f32 v29, v27, v80, -v16
	v_mul_f32_e32 v31, v27, v81
	s_waitcnt vmcnt(9)
	v_mul_f32_e32 v16, v103, v87
	v_fmac_f32_e32 v31, v112, v80
	v_fma_f32 v112, v34, v86, -v16
	v_mul_f32_e32 v34, v34, v87
	s_waitcnt lgkmcnt(1)
	v_mul_f32_e32 v16, v114, v85
	ds_read2_b32 v[82:83], v60 offset0:60 offset1:150
	ds_read2_b32 v[76:77], v66 offset0:36 offset1:126
	v_fmac_f32_e32 v34, v103, v86
	v_fma_f32 v103, v25, v84, -v16
	s_waitcnt vmcnt(7)
	v_mul_f32_e32 v16, v107, v91
	v_fma_f32 v56, v32, v90, -v16
	s_waitcnt lgkmcnt(2)
	v_mul_f32_e32 v16, v78, v89
	v_mul_f32_e32 v32, v32, v91
	v_fma_f32 v91, v21, v88, -v16
	v_mul_f32_e32 v27, v25, v85
	v_fmac_f32_e32 v32, v107, v90
	v_fmac_f32_e32 v27, v114, v84
	v_mul_f32_e32 v90, v21, v89
	s_waitcnt lgkmcnt(0)
	v_mul_f32_e32 v21, v77, v55
	v_fma_f32 v21, v12, v54, -v21
	v_mul_f32_e32 v12, v12, v55
	v_fmac_f32_e32 v12, v77, v54
	v_fmac_f32_e32 v90, v78, v88
	ds_read2_b32 v[54:55], v0 offset1:90
	v_mul_u32_u24_e32 v6, 0x4b0, v6
	v_lshlrev_b32_e32 v8, 2, v8
	v_add3_u32 v6, 0, v6, v8
	v_add_u32_e32 v8, 0x200, v6
	s_waitcnt vmcnt(6)
	v_mul_f32_e32 v16, v111, v47
	v_fma_f32 v107, v30, v46, -v16
	v_mul_f32_e32 v30, v30, v47
	v_mul_f32_e32 v16, v82, v45
	v_fma_f32 v114, v17, v44, -v16
	v_fmac_f32_e32 v30, v111, v46
	v_mul_f32_e32 v111, v17, v45
	ds_read2_b32 v[16:17], v71 offset0:88 offset1:178
	v_fmac_f32_e32 v111, v82, v44
	v_sub_f32_e32 v44, v21, v122
	v_sub_f32_e32 v45, v122, v21
	s_waitcnt vmcnt(0) lgkmcnt(0)
	s_barrier
	v_mul_f32_e32 v25, v16, v102
	v_fma_f32 v125, v13, v101, -v25
	v_mul_f32_e32 v102, v13, v102
	v_mul_f32_e32 v13, v113, v49
	v_fma_f32 v46, v28, v48, -v13
	v_mul_f32_e32 v13, v100, v51
	v_fma_f32 v85, v23, v50, -v13
	v_mul_f32_e32 v13, v115, v93
	v_fma_f32 v77, v26, v92, -v13
	v_mul_f32_e32 v13, v104, v95
	v_fma_f32 v86, v19, v94, -v13
	v_mul_f32_e32 v47, v28, v49
	v_mul_f32_e32 v81, v23, v51
	v_fmac_f32_e32 v102, v16, v101
	v_fmac_f32_e32 v81, v100, v50
	v_sub_f32_e32 v16, v119, v121
	v_fmac_f32_e32 v47, v113, v48
	v_mul_f32_e32 v13, v79, v73
	v_fma_f32 v78, v22, v72, -v13
	v_mul_f32_e32 v13, v108, v75
	v_mul_f32_e32 v49, v22, v73
	v_fma_f32 v88, v15, v74, -v13
	v_mul_f32_e32 v13, v83, v97
	v_fmac_f32_e32 v49, v79, v72
	v_fma_f32 v79, v18, v96, -v13
	v_mul_f32_e32 v13, v76, v99
	v_fma_f32 v89, v11, v98, -v13
	v_add_f32_e32 v13, v118, v120
	v_mul_f32_e32 v84, v15, v75
	v_mul_f32_e32 v87, v11, v99
	;; [unrolled: 1-line block ×3, first 2 shown]
	v_fma_f32 v15, -0.5, v13, v9
	v_fmac_f32_e32 v87, v76, v98
	v_fma_f32 v80, v14, v105, -v11
	v_mul_f32_e32 v76, v14, v106
	v_sub_f32_e32 v13, v117, v124
	v_mov_b32_e32 v14, v15
	v_mul_f32_e32 v50, v18, v97
	v_fmac_f32_e32 v76, v17, v105
	v_fmac_f32_e32 v14, 0x3f737871, v13
	v_sub_f32_e32 v17, v116, v118
	v_sub_f32_e32 v18, v109, v120
	v_fmac_f32_e32 v15, 0xbf737871, v13
	v_fmac_f32_e32 v14, 0x3f167918, v16
	v_add_f32_e32 v17, v17, v18
	v_fmac_f32_e32 v15, 0xbf167918, v16
	v_fmac_f32_e32 v14, 0x3e9e377a, v17
	;; [unrolled: 1-line block ×3, first 2 shown]
	v_add_f32_e32 v17, v116, v109
	v_fma_f32 v22, -0.5, v17, v9
	v_mov_b32_e32 v17, v22
	v_add_f32_e32 v11, v9, v116
	v_fmac_f32_e32 v17, 0xbf737871, v16
	v_sub_f32_e32 v9, v118, v116
	v_sub_f32_e32 v18, v120, v109
	v_fmac_f32_e32 v22, 0x3f737871, v16
	v_fmac_f32_e32 v17, 0x3f167918, v13
	v_add_f32_e32 v9, v9, v18
	v_fmac_f32_e32 v22, 0xbf167918, v13
	v_fmac_f32_e32 v17, 0x3e9e377a, v9
	;; [unrolled: 1-line block ×3, first 2 shown]
	v_add_f32_e32 v9, v54, v117
	v_add_f32_e32 v9, v9, v119
	;; [unrolled: 1-line block ×5, first 2 shown]
	v_mul_f32_e32 v48, v26, v93
	v_fma_f32 v26, -0.5, v9, v54
	v_sub_f32_e32 v9, v116, v109
	v_mov_b32_e32 v28, v26
	v_fmac_f32_e32 v28, 0xbf737871, v9
	v_sub_f32_e32 v13, v118, v120
	v_sub_f32_e32 v16, v117, v119
	;; [unrolled: 1-line block ×3, first 2 shown]
	v_fmac_f32_e32 v26, 0x3f737871, v9
	v_fmac_f32_e32 v28, 0xbf167918, v13
	v_add_f32_e32 v16, v16, v18
	v_fmac_f32_e32 v26, 0x3f167918, v13
	v_fmac_f32_e32 v28, 0x3e9e377a, v16
	;; [unrolled: 1-line block ×3, first 2 shown]
	v_add_f32_e32 v16, v117, v124
	v_fma_f32 v51, -0.5, v16, v54
	v_mov_b32_e32 v54, v51
	v_fmac_f32_e32 v54, 0x3f737871, v13
	v_fmac_f32_e32 v51, 0xbf737871, v13
	;; [unrolled: 1-line block ×4, first 2 shown]
	v_add_f32_e32 v9, v42, v35
	v_sub_f32_e32 v16, v119, v117
	v_sub_f32_e32 v18, v121, v124
	v_add_f32_e32 v9, v9, v33
	v_add_f32_e32 v16, v16, v18
	;; [unrolled: 1-line block ×3, first 2 shown]
	v_fmac_f32_e32 v54, 0x3e9e377a, v16
	v_fmac_f32_e32 v51, 0x3e9e377a, v16
	v_add_f32_e32 v16, v9, v21
	v_add_f32_e32 v9, v33, v122
	v_fma_f32 v9, -0.5, v9, v42
	v_sub_f32_e32 v13, v24, v12
	v_mov_b32_e32 v18, v9
	v_mul_f32_e32 v82, v19, v95
	v_fmac_f32_e32 v18, 0x3f737871, v13
	v_sub_f32_e32 v19, v20, v123
	v_sub_f32_e32 v25, v35, v33
	v_fmac_f32_e32 v9, 0xbf737871, v13
	v_fmac_f32_e32 v18, 0x3f167918, v19
	v_add_f32_e32 v25, v25, v44
	v_fmac_f32_e32 v9, 0xbf167918, v19
	v_fmac_f32_e32 v18, 0x3e9e377a, v25
	;; [unrolled: 1-line block ×3, first 2 shown]
	v_add_f32_e32 v25, v35, v21
	v_fmac_f32_e32 v42, -0.5, v25
	v_mov_b32_e32 v25, v42
	v_fmac_f32_e32 v25, 0xbf737871, v19
	v_fmac_f32_e32 v42, 0x3f737871, v19
	;; [unrolled: 1-line block ×4, first 2 shown]
	v_add_f32_e32 v13, v43, v24
	v_add_f32_e32 v13, v13, v20
	;; [unrolled: 1-line block ×3, first 2 shown]
	v_fmac_f32_e32 v50, v83, v96
	v_add_f32_e32 v83, v13, v12
	v_add_f32_e32 v13, v20, v123
	v_fmac_f32_e32 v48, v115, v92
	v_fma_f32 v92, -0.5, v13, v43
	v_sub_f32_e32 v44, v33, v35
	v_sub_f32_e32 v13, v35, v21
	v_mov_b32_e32 v35, v92
	v_fmac_f32_e32 v35, 0xbf737871, v13
	v_sub_f32_e32 v19, v33, v122
	v_sub_f32_e32 v21, v24, v20
	;; [unrolled: 1-line block ×3, first 2 shown]
	v_fmac_f32_e32 v92, 0x3f737871, v13
	v_fmac_f32_e32 v35, 0xbf167918, v19
	v_add_f32_e32 v21, v21, v33
	v_fmac_f32_e32 v92, 0x3f167918, v19
	v_fmac_f32_e32 v35, 0x3e9e377a, v21
	;; [unrolled: 1-line block ×3, first 2 shown]
	v_add_f32_e32 v21, v24, v12
	v_fmac_f32_e32 v43, -0.5, v21
	v_mov_b32_e32 v33, v43
	v_fmac_f32_e32 v33, 0x3f737871, v19
	v_sub_f32_e32 v20, v20, v24
	v_sub_f32_e32 v12, v123, v12
	v_fmac_f32_e32 v33, 0xbf167918, v13
	v_add_f32_e32 v12, v20, v12
	v_add_f32_e32 v44, v44, v45
	v_fmac_f32_e32 v33, 0x3e9e377a, v12
	v_fmac_f32_e32 v25, 0x3e9e377a, v44
	v_fmac_f32_e32 v43, 0xbf737871, v19
	v_mul_f32_e32 v20, 0x3f737871, v33
	v_fmac_f32_e32 v43, 0x3f167918, v13
	v_fmac_f32_e32 v20, 0x3e9e377a, v25
	;; [unrolled: 1-line block ×3, first 2 shown]
	v_add_f32_e32 v11, v11, v118
	v_fmac_f32_e32 v42, 0x3e9e377a, v44
	v_fmac_f32_e32 v43, 0x3e9e377a, v12
	v_mul_f32_e32 v12, 0x3f167918, v35
	v_add_f32_e32 v19, v17, v20
	v_mul_f32_e32 v94, 0xbf167918, v18
	v_sub_f32_e32 v17, v17, v20
	v_add_f32_e32 v20, v10, v110
	v_add_f32_e32 v11, v11, v120
	v_fmac_f32_e32 v12, 0x3f4f1bbd, v18
	v_mul_f32_e32 v13, 0x3e9e377a, v42
	v_fmac_f32_e32 v94, 0x3f4f1bbd, v35
	v_mul_f32_e32 v35, 0xbf737871, v25
	v_mul_f32_e32 v18, 0x3e9e377a, v43
	v_add_f32_e32 v20, v20, v112
	v_add_f32_e32 v11, v11, v109
	v_fma_f32 v24, v43, s6, -v13
	v_fmac_f32_e32 v35, 0x3e9e377a, v33
	v_fma_f32 v33, v42, s5, -v18
	v_mul_f32_e32 v18, 0x3f4f1bbd, v92
	v_add_f32_e32 v20, v20, v56
	v_add_f32_e32 v44, v11, v16
	;; [unrolled: 1-line block ×4, first 2 shown]
	v_fma_f32 v42, v9, s4, -v18
	v_sub_f32_e32 v18, v11, v16
	v_sub_f32_e32 v16, v14, v12
	;; [unrolled: 1-line block ×3, first 2 shown]
	v_add_f32_e32 v22, v20, v107
	v_add_f32_e32 v20, v112, v56
	;; [unrolled: 1-line block ×3, first 2 shown]
	v_sub_f32_e32 v11, v51, v33
	v_fma_f32 v51, -0.5, v20, v10
	v_sub_f32_e32 v20, v36, v30
	v_mov_b32_e32 v33, v51
	v_fmac_f32_e32 v84, v108, v74
	v_mul_f32_e32 v13, 0x3f4f1bbd, v9
	v_add_f32_e32 v74, v23, v83
	v_add_f32_e32 v75, v28, v94
	v_add_f32_e32 v72, v54, v35
	v_add_f32_e32 v9, v26, v42
	v_sub_f32_e32 v25, v23, v83
	v_sub_f32_e32 v12, v28, v94
	v_sub_f32_e32 v24, v54, v35
	v_sub_f32_e32 v23, v26, v42
	v_fmac_f32_e32 v33, 0x3f737871, v20
	v_sub_f32_e32 v26, v34, v32
	v_sub_f32_e32 v28, v110, v112
	;; [unrolled: 1-line block ×3, first 2 shown]
	v_fmac_f32_e32 v51, 0xbf737871, v20
	v_fmac_f32_e32 v33, 0x3f167918, v26
	v_add_f32_e32 v28, v28, v35
	v_fmac_f32_e32 v51, 0xbf167918, v26
	v_fmac_f32_e32 v33, 0x3e9e377a, v28
	;; [unrolled: 1-line block ×3, first 2 shown]
	v_add_f32_e32 v28, v110, v107
	v_fmac_f32_e32 v10, -0.5, v28
	v_mov_b32_e32 v54, v10
	v_fmac_f32_e32 v54, 0xbf737871, v26
	v_fmac_f32_e32 v10, 0x3f737871, v26
	;; [unrolled: 1-line block ×4, first 2 shown]
	v_add_f32_e32 v20, v55, v36
	v_add_f32_e32 v20, v20, v34
	;; [unrolled: 1-line block ×5, first 2 shown]
	v_fma_f32 v93, v92, s7, -v13
	v_sub_f32_e32 v28, v112, v110
	v_sub_f32_e32 v35, v56, v107
	v_fma_f32 v92, -0.5, v20, v55
	v_add_f32_e32 v13, v15, v93
	v_sub_f32_e32 v15, v15, v93
	v_add_f32_e32 v28, v28, v35
	v_sub_f32_e32 v20, v110, v107
	v_mov_b32_e32 v93, v92
	v_fmac_f32_e32 v54, 0x3e9e377a, v28
	v_fmac_f32_e32 v10, 0x3e9e377a, v28
	;; [unrolled: 1-line block ×3, first 2 shown]
	v_sub_f32_e32 v26, v112, v56
	v_sub_f32_e32 v28, v36, v34
	;; [unrolled: 1-line block ×3, first 2 shown]
	v_fmac_f32_e32 v92, 0x3f737871, v20
	v_fmac_f32_e32 v93, 0xbf167918, v26
	v_add_f32_e32 v28, v28, v35
	v_fmac_f32_e32 v92, 0x3f167918, v26
	v_fmac_f32_e32 v93, 0x3e9e377a, v28
	;; [unrolled: 1-line block ×3, first 2 shown]
	v_add_f32_e32 v28, v36, v30
	v_fmac_f32_e32 v55, -0.5, v28
	v_mov_b32_e32 v56, v55
	v_fmac_f32_e32 v56, 0x3f737871, v26
	v_fmac_f32_e32 v55, 0xbf737871, v26
	;; [unrolled: 1-line block ×4, first 2 shown]
	v_add_f32_e32 v20, v29, v103
	v_add_f32_e32 v20, v20, v91
	v_sub_f32_e32 v28, v34, v36
	v_sub_f32_e32 v30, v32, v30
	v_add_f32_e32 v20, v20, v114
	v_add_f32_e32 v28, v28, v30
	;; [unrolled: 1-line block ×4, first 2 shown]
	v_fma_f32 v32, -0.5, v20, v29
	v_fmac_f32_e32 v56, 0x3e9e377a, v28
	v_fmac_f32_e32 v55, 0x3e9e377a, v28
	v_sub_f32_e32 v20, v27, v102
	v_mov_b32_e32 v28, v32
	v_fmac_f32_e32 v28, 0x3f737871, v20
	v_sub_f32_e32 v26, v90, v111
	v_sub_f32_e32 v34, v103, v91
	;; [unrolled: 1-line block ×3, first 2 shown]
	v_fmac_f32_e32 v32, 0xbf737871, v20
	v_fmac_f32_e32 v28, 0x3f167918, v26
	v_add_f32_e32 v34, v34, v35
	v_fmac_f32_e32 v32, 0xbf167918, v26
	v_fmac_f32_e32 v28, 0x3e9e377a, v34
	;; [unrolled: 1-line block ×3, first 2 shown]
	v_add_f32_e32 v34, v103, v125
	v_fmac_f32_e32 v29, -0.5, v34
	v_mov_b32_e32 v34, v29
	v_fmac_f32_e32 v34, 0xbf737871, v26
	v_fmac_f32_e32 v29, 0x3f737871, v26
	;; [unrolled: 1-line block ×4, first 2 shown]
	v_add_f32_e32 v20, v31, v27
	v_add_f32_e32 v20, v20, v90
	;; [unrolled: 1-line block ×5, first 2 shown]
	v_sub_f32_e32 v35, v91, v103
	v_sub_f32_e32 v36, v114, v125
	v_fma_f32 v95, -0.5, v20, v31
	v_add_f32_e32 v35, v35, v36
	v_sub_f32_e32 v20, v103, v125
	v_mov_b32_e32 v96, v95
	v_fmac_f32_e32 v34, 0x3e9e377a, v35
	v_fmac_f32_e32 v29, 0x3e9e377a, v35
	;; [unrolled: 1-line block ×3, first 2 shown]
	v_sub_f32_e32 v26, v91, v114
	v_sub_f32_e32 v35, v27, v90
	;; [unrolled: 1-line block ×3, first 2 shown]
	v_fmac_f32_e32 v95, 0x3f737871, v20
	v_fmac_f32_e32 v96, 0xbf167918, v26
	v_add_f32_e32 v35, v35, v36
	v_fmac_f32_e32 v95, 0x3f167918, v26
	v_fmac_f32_e32 v96, 0x3e9e377a, v35
	;; [unrolled: 1-line block ×3, first 2 shown]
	v_add_f32_e32 v35, v27, v102
	v_fmac_f32_e32 v31, -0.5, v35
	v_mov_b32_e32 v91, v31
	v_sub_f32_e32 v27, v90, v27
	v_sub_f32_e32 v35, v111, v102
	v_fmac_f32_e32 v31, 0xbf737871, v26
	v_fmac_f32_e32 v91, 0x3f737871, v26
	v_add_f32_e32 v27, v27, v35
	v_fmac_f32_e32 v31, 0x3f167918, v20
	v_fmac_f32_e32 v91, 0xbf167918, v20
	;; [unrolled: 1-line block ×3, first 2 shown]
	v_mul_f32_e32 v20, 0x3e9e377a, v29
	v_mul_f32_e32 v100, 0xbf167918, v28
	v_fmac_f32_e32 v91, 0x3e9e377a, v27
	v_mul_f32_e32 v90, 0x3f167918, v96
	v_fma_f32 v98, v31, s6, -v20
	v_fmac_f32_e32 v100, 0x3f4f1bbd, v96
	v_mul_f32_e32 v96, 0xbf737871, v34
	v_mul_f32_e32 v31, 0x3e9e377a, v31
	v_fmac_f32_e32 v90, 0x3f4f1bbd, v28
	v_mul_f32_e32 v97, 0x3f737871, v91
	v_mul_f32_e32 v20, 0x3f4f1bbd, v32
	v_fmac_f32_e32 v96, 0x3e9e377a, v91
	v_fma_f32 v91, v29, s5, -v31
	v_mul_f32_e32 v31, 0x3f4f1bbd, v95
	v_add_f32_e32 v43, v33, v90
	v_fma_f32 v99, v95, s7, -v20
	v_fma_f32 v95, v32, s4, -v31
	v_sub_f32_e32 v31, v33, v90
	v_add_f32_e32 v90, v86, v88
	v_fmac_f32_e32 v97, 0x3e9e377a, v34
	v_fma_f32 v90, -0.5, v90, v5
	v_add_f32_e32 v35, v54, v97
	v_add_f32_e32 v28, v56, v96
	;; [unrolled: 1-line block ×4, first 2 shown]
	v_sub_f32_e32 v33, v54, v97
	v_sub_f32_e32 v54, v56, v96
	;; [unrolled: 1-line block ×5, first 2 shown]
	v_mov_b32_e32 v92, v90
	v_add_f32_e32 v42, v22, v30
	v_add_f32_e32 v36, v10, v98
	;; [unrolled: 1-line block ×5, first 2 shown]
	v_sub_f32_e32 v34, v22, v30
	v_sub_f32_e32 v22, v10, v98
	;; [unrolled: 1-line block ×5, first 2 shown]
	v_fmac_f32_e32 v92, 0x3f737871, v91
	v_sub_f32_e32 v93, v82, v84
	v_sub_f32_e32 v94, v85, v86
	;; [unrolled: 1-line block ×3, first 2 shown]
	v_fmac_f32_e32 v90, 0xbf737871, v91
	v_fmac_f32_e32 v92, 0x3f167918, v93
	v_add_f32_e32 v94, v94, v95
	v_fmac_f32_e32 v90, 0xbf167918, v93
	v_fmac_f32_e32 v92, 0x3e9e377a, v94
	;; [unrolled: 1-line block ×3, first 2 shown]
	v_add_f32_e32 v94, v85, v89
	v_add_f32_e32 v83, v5, v85
	v_fmac_f32_e32 v5, -0.5, v94
	v_mov_b32_e32 v94, v5
	v_fmac_f32_e32 v94, 0xbf737871, v93
	v_sub_f32_e32 v95, v86, v85
	v_sub_f32_e32 v96, v88, v89
	v_fmac_f32_e32 v5, 0x3f737871, v93
	v_add_f32_e32 v93, v82, v84
	v_add_f32_e32 v83, v83, v86
	v_fmac_f32_e32 v94, 0x3f167918, v91
	v_add_f32_e32 v95, v95, v96
	v_fmac_f32_e32 v5, 0xbf167918, v91
	v_fma_f32 v93, -0.5, v93, v7
	v_add_f32_e32 v83, v83, v88
	v_fmac_f32_e32 v94, 0x3e9e377a, v95
	v_fmac_f32_e32 v5, 0x3e9e377a, v95
	v_sub_f32_e32 v85, v85, v89
	v_mov_b32_e32 v95, v93
	v_add_f32_e32 v83, v83, v89
	v_fmac_f32_e32 v95, 0xbf737871, v85
	v_sub_f32_e32 v86, v86, v88
	v_sub_f32_e32 v88, v81, v82
	;; [unrolled: 1-line block ×3, first 2 shown]
	v_fmac_f32_e32 v93, 0x3f737871, v85
	v_add_f32_e32 v91, v7, v81
	v_fmac_f32_e32 v95, 0xbf167918, v86
	v_add_f32_e32 v88, v88, v89
	;; [unrolled: 2-line block ×3, first 2 shown]
	v_fmac_f32_e32 v95, 0x3e9e377a, v88
	v_fmac_f32_e32 v93, 0x3e9e377a, v88
	v_add_f32_e32 v88, v81, v87
	v_sub_f32_e32 v81, v82, v81
	v_sub_f32_e32 v82, v84, v87
	v_fmac_f32_e32 v7, -0.5, v88
	v_add_f32_e32 v81, v81, v82
	v_add_f32_e32 v82, v78, v79
	v_mov_b32_e32 v96, v7
	v_fma_f32 v82, -0.5, v82, v46
	v_add_f32_e32 v91, v91, v84
	v_fmac_f32_e32 v96, 0x3f737871, v86
	v_fmac_f32_e32 v7, 0xbf737871, v86
	v_sub_f32_e32 v84, v48, v76
	v_mov_b32_e32 v88, v82
	v_add_f32_e32 v91, v91, v87
	v_fmac_f32_e32 v96, 0xbf167918, v85
	v_fmac_f32_e32 v7, 0x3f167918, v85
	;; [unrolled: 1-line block ×3, first 2 shown]
	v_sub_f32_e32 v85, v49, v50
	v_sub_f32_e32 v86, v77, v78
	;; [unrolled: 1-line block ×3, first 2 shown]
	v_fmac_f32_e32 v82, 0xbf737871, v84
	v_fmac_f32_e32 v88, 0x3f167918, v85
	v_add_f32_e32 v86, v86, v87
	v_fmac_f32_e32 v82, 0xbf167918, v85
	v_fmac_f32_e32 v88, 0x3e9e377a, v86
	;; [unrolled: 1-line block ×3, first 2 shown]
	v_add_f32_e32 v86, v77, v80
	v_fmac_f32_e32 v96, 0x3e9e377a, v81
	v_fmac_f32_e32 v7, 0x3e9e377a, v81
	v_add_f32_e32 v81, v46, v77
	v_fmac_f32_e32 v46, -0.5, v86
	v_mov_b32_e32 v89, v46
	v_add_f32_e32 v81, v81, v78
	v_fmac_f32_e32 v89, 0xbf737871, v85
	v_fmac_f32_e32 v46, 0x3f737871, v85
	v_add_f32_e32 v85, v49, v50
	v_add_f32_e32 v81, v81, v79
	v_fma_f32 v97, -0.5, v85, v47
	v_add_f32_e32 v81, v81, v80
	v_sub_f32_e32 v86, v78, v77
	v_sub_f32_e32 v87, v79, v80
	;; [unrolled: 1-line block ×3, first 2 shown]
	v_mov_b32_e32 v80, v97
	v_fmac_f32_e32 v80, 0xbf737871, v77
	v_sub_f32_e32 v78, v78, v79
	v_sub_f32_e32 v79, v48, v49
	;; [unrolled: 1-line block ×3, first 2 shown]
	v_fmac_f32_e32 v97, 0x3f737871, v77
	v_fmac_f32_e32 v80, 0xbf167918, v78
	v_add_f32_e32 v79, v79, v85
	v_fmac_f32_e32 v97, 0x3f167918, v78
	v_fmac_f32_e32 v80, 0x3e9e377a, v79
	v_fmac_f32_e32 v97, 0x3e9e377a, v79
	v_add_f32_e32 v79, v48, v76
	v_fmac_f32_e32 v89, 0x3f167918, v84
	v_fmac_f32_e32 v46, 0xbf167918, v84
	v_add_f32_e32 v84, v47, v48
	v_fmac_f32_e32 v47, -0.5, v79
	v_mov_b32_e32 v79, v47
	v_add_f32_e32 v86, v86, v87
	v_add_f32_e32 v84, v84, v49
	v_fmac_f32_e32 v79, 0x3f737871, v78
	v_sub_f32_e32 v48, v49, v48
	v_sub_f32_e32 v49, v50, v76
	v_fmac_f32_e32 v47, 0xbf737871, v78
	v_fmac_f32_e32 v46, 0x3e9e377a, v86
	;; [unrolled: 1-line block ×3, first 2 shown]
	v_add_f32_e32 v48, v48, v49
	v_fmac_f32_e32 v47, 0x3f167918, v77
	v_add_f32_e32 v84, v84, v50
	v_fmac_f32_e32 v79, 0x3e9e377a, v48
	v_fmac_f32_e32 v47, 0x3e9e377a, v48
	v_mul_f32_e32 v48, 0x3e9e377a, v46
	v_add_f32_e32 v84, v84, v76
	v_mul_f32_e32 v98, 0x3f167918, v80
	v_fma_f32 v100, v47, s6, -v48
	v_fmac_f32_e32 v89, 0x3e9e377a, v86
	v_fmac_f32_e32 v98, 0x3f4f1bbd, v88
	v_add_f32_e32 v86, v5, v100
	v_add_f32_e32 v76, v91, v84
	v_mul_f32_e32 v102, 0xbf167918, v88
	v_sub_f32_e32 v88, v5, v100
	v_sub_f32_e32 v5, v91, v84
	v_add3_u32 v84, 0, v40, v41
	v_mul_f32_e32 v48, 0x3f4f1bbd, v82
	v_add_u32_e32 v91, 0x200, v84
	v_mul_f32_e32 v99, 0x3f737871, v79
	v_fma_f32 v101, v97, s7, -v48
	v_mul_f32_e32 v47, 0x3e9e377a, v47
	ds_write2_b32 v84, v44, v45 offset1:30
	ds_write2_b32 v84, v19, v21 offset0:60 offset1:90
	ds_write2_b32 v84, v13, v18 offset0:120 offset1:150
	;; [unrolled: 1-line block ×4, first 2 shown]
	v_mul_u32_u24_e32 v13, 0x4b0, v39
	v_lshlrev_b32_sdwa v14, v37, v38 dst_sel:DWORD dst_unused:UNUSED_PAD src0_sel:DWORD src1_sel:BYTE_0
	v_fmac_f32_e32 v99, 0x3e9e377a, v89
	v_add_f32_e32 v48, v90, v101
	v_mul_f32_e32 v103, 0xbf737871, v89
	v_fma_f32 v104, v46, s5, -v47
	v_mul_f32_e32 v46, 0x3f4f1bbd, v97
	v_sub_f32_e32 v89, v90, v101
	v_add3_u32 v90, 0, v13, v14
	v_add_f32_e32 v85, v83, v81
	v_add_f32_e32 v87, v92, v98
	;; [unrolled: 1-line block ×3, first 2 shown]
	v_fmac_f32_e32 v102, 0x3f4f1bbd, v80
	v_fmac_f32_e32 v103, 0x3e9e377a, v79
	v_fma_f32 v97, v82, s4, -v46
	v_sub_f32_e32 v50, v83, v81
	v_sub_f32_e32 v46, v92, v98
	;; [unrolled: 1-line block ×3, first 2 shown]
	v_add_u32_e32 v92, 0x200, v90
	v_add_f32_e32 v77, v95, v102
	v_add_f32_e32 v78, v96, v103
	v_add_f32_e32 v79, v7, v104
	v_add_f32_e32 v80, v93, v97
	v_sub_f32_e32 v81, v95, v102
	v_sub_f32_e32 v82, v96, v103
	;; [unrolled: 1-line block ×4, first 2 shown]
	ds_write2_b32 v90, v42, v43 offset1:30
	ds_write2_b32 v90, v35, v36 offset0:60 offset1:90
	ds_write2_b32 v90, v20, v34 offset0:120 offset1:150
	;; [unrolled: 1-line block ×4, first 2 shown]
	ds_write2_b32 v6, v85, v87 offset1:30
	ds_write2_b32 v6, v49, v86 offset0:60 offset1:90
	ds_write2_b32 v6, v48, v50 offset0:120 offset1:150
	;; [unrolled: 1-line block ×4, first 2 shown]
	s_waitcnt lgkmcnt(0)
	s_barrier
	ds_read2_b32 v[21:22], v0 offset1:90
	ds_read2_b32 v[49:50], v59 offset0:132 offset1:222
	ds_read2_b32 v[30:31], v57 offset0:8 offset1:98
	;; [unrolled: 1-line block ×14, first 2 shown]
	s_waitcnt lgkmcnt(0)
	s_barrier
	ds_write2_b32 v84, v74, v75 offset1:30
	ds_write2_b32 v84, v72, v73 offset0:60 offset1:90
	ds_write2_b32 v84, v9, v25 offset0:120 offset1:150
	ds_write2_b32 v84, v12, v24 offset0:180 offset1:210
	ds_write2_b32 v91, v11, v23 offset0:112 offset1:142
	ds_write2_b32 v90, v26, v27 offset1:30
	ds_write2_b32 v90, v28, v29 offset0:60 offset1:90
	ds_write2_b32 v90, v32, v10 offset0:120 offset1:150
	ds_write2_b32 v90, v51, v54 offset0:180 offset1:210
	ds_write2_b32 v92, v55, v56 offset0:112 offset1:142
	;; [unrolled: 5-line block ×3, first 2 shown]
	v_lshlrev_b32_e32 v5, 1, v68
	v_mov_b32_e32 v6, 0
	v_lshlrev_b64 v[7:8], 3, v[5:6]
	v_lshlrev_b32_e32 v9, 1, v52
	v_mov_b32_e32 v10, v6
	v_mov_b32_e32 v29, s13
	v_add_co_u32_e32 v7, vcc, s12, v7
	v_lshlrev_b64 v[9:10], 3, v[9:10]
	v_addc_co_u32_e32 v8, vcc, v29, v8, vcc
	v_lshlrev_b32_e32 v11, 1, v53
	v_mov_b32_e32 v12, v6
	v_add_co_u32_e32 v9, vcc, s12, v9
	v_lshlrev_b64 v[11:12], 3, v[11:12]
	v_addc_co_u32_e32 v10, vcc, v29, v10, vcc
	v_add_co_u32_e32 v11, vcc, s12, v11
	v_addc_co_u32_e32 v12, vcc, v29, v12, vcc
	v_add_u32_e32 v72, 0x10e, v68
	v_subrev_u32_e32 v25, 30, v68
	v_cmp_gt_u32_e32 vcc, 30, v68
	v_cndmask_b32_e32 v51, v25, v72, vcc
	v_lshlrev_b32_e32 v25, 1, v51
	v_mov_b32_e32 v26, v6
	v_lshlrev_b64 v[25:26], 3, v[25:26]
	v_add_u32_e32 v27, 0x78, v5
	v_mov_b32_e32 v28, v6
	v_add_co_u32_e32 v25, vcc, s12, v25
	v_lshlrev_b64 v[27:28], 3, v[27:28]
	v_addc_co_u32_e32 v26, vcc, v29, v26, vcc
	v_add_co_u32_e32 v27, vcc, s12, v27
	v_addc_co_u32_e32 v28, vcc, v29, v28, vcc
	s_waitcnt lgkmcnt(0)
	s_barrier
	global_load_dwordx4 v[77:80], v[7:8], off offset:2376
	global_load_dwordx4 v[81:84], v[9:10], off offset:2376
	ds_read2_b32 v[23:24], v0 offset1:90
	ds_read2_b32 v[117:118], v59 offset0:132 offset1:222
	global_load_dwordx4 v[85:88], v[11:12], off offset:2376
	global_load_dwordx4 v[89:92], v[25:26], off offset:2376
	ds_read2_b32 v[119:120], v57 offset0:8 offset1:98
	ds_read2_b32 v[25:26], v58 offset0:52 offset1:142
	global_load_dwordx4 v[93:96], v[27:28], off offset:2376
	v_add_u32_e32 v27, 0x12c, v5
	v_mov_b32_e32 v28, v6
	v_lshlrev_b64 v[27:28], 3, v[27:28]
	v_add_u32_e32 v73, 0x21c, v68
	v_add_co_u32_e32 v27, vcc, s12, v27
	v_add_u32_e32 v74, 0x2d0, v68
	v_addc_co_u32_e32 v28, vcc, v29, v28, vcc
	global_load_dwordx4 v[97:100], v[27:28], off offset:2376
	v_lshrrev_b16_e32 v27, 2, v73
	v_lshrrev_b16_e32 v29, 2, v74
	v_mul_u32_u24_e32 v27, 0x6d3b, v27
	v_mul_u32_u24_e32 v29, 0x6d3b, v29
	v_lshrrev_b32_e32 v52, 21, v27
	v_lshrrev_b32_e32 v29, 21, v29
	v_mul_lo_u16_e32 v27, 0x12c, v52
	v_mul_lo_u16_e32 v29, 0x12c, v29
	v_sub_u16_e32 v53, v73, v27
	v_sub_u16_e32 v55, v74, v29
	v_add_u32_e32 v54, 0x276, v68
	v_lshlrev_b32_e32 v27, 4, v53
	v_lshlrev_b32_e32 v29, 4, v55
	global_load_dwordx4 v[101:104], v27, s[12:13] offset:2376
	global_load_dwordx4 v[109:112], v29, s[12:13] offset:2376
	v_lshrrev_b16_e32 v27, 2, v54
	v_mul_u32_u24_e32 v27, 0x6d3b, v27
	v_lshrrev_b32_e32 v27, 21, v27
	v_add_u32_e32 v75, 0x32a, v68
	v_mul_lo_u16_e32 v27, 0x12c, v27
	v_sub_u16_e32 v56, v54, v27
	v_lshrrev_b16_e32 v32, 2, v75
	v_lshlrev_b32_e32 v27, 4, v56
	v_mul_u32_u24_e32 v32, 0x6d3b, v32
	global_load_dwordx4 v[105:108], v27, s[12:13] offset:2376
	v_lshrrev_b32_e32 v32, 21, v32
	v_mul_lo_u16_e32 v32, 0x12c, v32
	v_sub_u16_e32 v76, v75, v32
	v_lshlrev_b32_e32 v32, 4, v76
	global_load_dwordx4 v[113:116], v32, s[12:13] offset:2376
	ds_read2_b32 v[121:122], v61 offset0:56 offset1:146
	ds_read2_b32 v[123:124], v60 offset0:60 offset1:150
	ds_read2_b32 v[27:28], v63 offset0:104 offset1:194
	v_cmp_lt_u32_e32 vcc, 29, v68
	v_lshl_add_u32 v76, v76, 2, 0
	s_movk_i32 s4, 0x1000
	s_waitcnt vmcnt(9) lgkmcnt(5)
	v_mul_f32_e32 v29, v117, v78
	v_fma_f32 v125, v49, v77, -v29
	v_mul_f32_e32 v126, v49, v78
	s_waitcnt lgkmcnt(4)
	v_mul_f32_e32 v29, v119, v80
	v_mul_f32_e32 v127, v30, v80
	v_fmac_f32_e32 v126, v117, v77
	v_fma_f32 v117, v30, v79, -v29
	v_fmac_f32_e32 v127, v119, v79
	ds_read2_b32 v[77:78], v62 offset0:108 offset1:198
	ds_read2_b32 v[79:80], v64 offset0:112 offset1:202
	s_waitcnt vmcnt(8)
	v_mul_f32_e32 v128, v50, v82
	v_mul_f32_e32 v32, v120, v84
	;; [unrolled: 1-line block ×3, first 2 shown]
	v_fmac_f32_e32 v128, v118, v81
	v_fma_f32 v118, v31, v83, -v32
	v_mul_f32_e32 v84, v31, v84
	s_waitcnt vmcnt(7) lgkmcnt(4)
	v_mul_f32_e32 v31, v121, v86
	v_mul_f32_e32 v86, v47, v86
	v_fma_f32 v119, v50, v81, -v29
	v_fmac_f32_e32 v84, v120, v83
	ds_read2_b32 v[49:50], v67 offset0:160 offset1:250
	v_fma_f32 v83, v47, v85, -v31
	v_fmac_f32_e32 v86, v121, v85
	s_waitcnt lgkmcnt(4)
	v_mul_f32_e32 v31, v123, v88
	v_mul_f32_e32 v88, v45, v88
	s_waitcnt vmcnt(5) lgkmcnt(2)
	v_mul_f32_e32 v85, v77, v94
	v_fmac_f32_e32 v88, v123, v87
	v_fma_f32 v123, v43, v93, -v85
	v_mul_f32_e32 v43, v43, v94
	ds_read2_b32 v[29:30], v65 offset0:28 offset1:118
	v_fma_f32 v120, v45, v87, -v31
	ds_read2_b32 v[81:82], v66 offset0:36 offset1:126
	ds_read2_b32 v[31:32], v69 offset0:80 offset1:170
	v_fmac_f32_e32 v43, v77, v93
	s_waitcnt lgkmcnt(4)
	v_mul_f32_e32 v77, v79, v96
	v_mul_f32_e32 v45, v122, v90
	v_fma_f32 v93, v41, v95, -v77
	v_mul_f32_e32 v41, v41, v96
	s_waitcnt vmcnt(4)
	v_mul_f32_e32 v77, v78, v98
	v_fma_f32 v87, v48, v89, -v45
	v_mul_f32_e32 v121, v48, v90
	ds_read2_b32 v[47:48], v70 offset0:84 offset1:174
	v_mul_f32_e32 v45, v124, v92
	v_fmac_f32_e32 v41, v79, v95
	v_fma_f32 v79, v44, v97, -v77
	v_mul_f32_e32 v77, v80, v100
	v_fmac_f32_e32 v121, v122, v89
	v_fma_f32 v122, v46, v91, -v45
	v_mul_f32_e32 v92, v46, v92
	ds_read2_b32 v[45:46], v71 offset0:88 offset1:178
	v_mul_f32_e32 v44, v44, v98
	v_fma_f32 v96, v42, v99, -v77
	v_mul_f32_e32 v42, v42, v100
	s_waitcnt vmcnt(3) lgkmcnt(5)
	v_mul_f32_e32 v77, v49, v102
	v_fmac_f32_e32 v44, v78, v97
	v_fmac_f32_e32 v42, v80, v99
	v_fma_f32 v80, v39, v101, -v77
	v_mul_f32_e32 v97, v39, v102
	s_waitcnt lgkmcnt(3)
	v_mul_f32_e32 v39, v81, v104
	v_fmac_f32_e32 v97, v49, v101
	v_fma_f32 v49, v37, v103, -v39
	v_mul_f32_e32 v98, v37, v104
	s_waitcnt vmcnt(1)
	v_mul_f32_e32 v37, v50, v106
	v_fma_f32 v99, v40, v105, -v37
	v_mul_f32_e32 v40, v40, v106
	v_mul_f32_e32 v37, v82, v108
	v_fmac_f32_e32 v40, v50, v105
	v_fma_f32 v50, v38, v107, -v37
	v_mul_f32_e32 v100, v38, v108
	s_waitcnt lgkmcnt(1)
	v_mul_f32_e32 v37, v47, v110
	v_fmac_f32_e32 v100, v82, v107
	v_fma_f32 v82, v35, v109, -v37
	v_mul_f32_e32 v101, v35, v110
	s_waitcnt lgkmcnt(0)
	v_mul_f32_e32 v35, v45, v112
	v_fmac_f32_e32 v101, v47, v109
	v_fma_f32 v47, v33, v111, -v35
	v_mul_f32_e32 v102, v33, v112
	s_waitcnt vmcnt(0)
	v_mul_f32_e32 v33, v48, v114
	v_fmac_f32_e32 v98, v81, v103
	v_fmac_f32_e32 v102, v45, v111
	v_fma_f32 v45, v36, v113, -v33
	v_mul_f32_e32 v103, v36, v114
	v_mul_f32_e32 v33, v46, v116
	v_fmac_f32_e32 v103, v48, v113
	v_fma_f32 v48, v34, v115, -v33
	v_add_f32_e32 v33, v21, v125
	v_add_f32_e32 v36, v33, v117
	;; [unrolled: 1-line block ×3, first 2 shown]
	v_fma_f32 v35, -0.5, v33, v21
	v_sub_f32_e32 v33, v126, v127
	v_mov_b32_e32 v21, v35
	v_fmac_f32_e32 v21, 0x3f5db3d7, v33
	v_fmac_f32_e32 v35, 0xbf5db3d7, v33
	v_add_f32_e32 v33, v23, v126
	v_add_f32_e32 v78, v33, v127
	;; [unrolled: 1-line block ×3, first 2 shown]
	v_fma_f32 v77, -0.5, v33, v23
	v_sub_f32_e32 v33, v125, v117
	v_mov_b32_e32 v23, v77
	v_mul_f32_e32 v104, v34, v116
	v_fmac_f32_e32 v23, 0xbf5db3d7, v33
	v_fmac_f32_e32 v77, 0x3f5db3d7, v33
	v_add_f32_e32 v33, v22, v119
	v_fmac_f32_e32 v104, v46, v115
	v_add_f32_e32 v46, v33, v118
	v_add_f32_e32 v33, v119, v118
	v_fmac_f32_e32 v22, -0.5, v33
	v_sub_f32_e32 v33, v128, v84
	v_mov_b32_e32 v105, v22
	v_fmac_f32_e32 v105, 0x3f5db3d7, v33
	v_fmac_f32_e32 v22, 0xbf5db3d7, v33
	v_add_f32_e32 v33, v24, v128
	v_add_f32_e32 v95, v33, v84
	;; [unrolled: 1-line block ×3, first 2 shown]
	v_fmac_f32_e32 v24, -0.5, v33
	v_sub_f32_e32 v33, v119, v118
	v_mov_b32_e32 v85, v24
	v_fmac_f32_e32 v85, 0xbf5db3d7, v33
	v_fmac_f32_e32 v24, 0x3f5db3d7, v33
	v_add_f32_e32 v33, v19, v83
	v_add_f32_e32 v106, v33, v120
	;; [unrolled: 1-line block ×3, first 2 shown]
	v_fma_f32 v107, -0.5, v33, v19
	v_sub_f32_e32 v19, v86, v88
	v_mov_b32_e32 v108, v107
	v_fmac_f32_e32 v108, 0x3f5db3d7, v19
	v_fmac_f32_e32 v107, 0xbf5db3d7, v19
	v_add_f32_e32 v19, v25, v86
	v_add_f32_e32 v94, v19, v88
	;; [unrolled: 1-line block ×3, first 2 shown]
	v_fma_f32 v86, -0.5, v19, v25
	v_sub_f32_e32 v19, v83, v120
	v_mov_b32_e32 v89, v86
	v_fmac_f32_e32 v89, 0xbf5db3d7, v19
	v_fmac_f32_e32 v86, 0x3f5db3d7, v19
	v_add_f32_e32 v19, v20, v87
	v_add_f32_e32 v109, v19, v122
	;; [unrolled: 1-line block ×3, first 2 shown]
	v_fmac_f32_e32 v92, v124, v91
	v_fmac_f32_e32 v20, -0.5, v19
	v_sub_f32_e32 v19, v121, v92
	v_mov_b32_e32 v110, v20
	v_fmac_f32_e32 v110, 0x3f5db3d7, v19
	v_fmac_f32_e32 v20, 0xbf5db3d7, v19
	v_add_f32_e32 v19, v26, v121
	v_add_f32_e32 v90, v19, v92
	;; [unrolled: 1-line block ×3, first 2 shown]
	v_fmac_f32_e32 v26, -0.5, v19
	v_sub_f32_e32 v19, v87, v122
	v_mov_b32_e32 v91, v26
	v_fmac_f32_e32 v91, 0xbf5db3d7, v19
	v_fmac_f32_e32 v26, 0x3f5db3d7, v19
	v_add_f32_e32 v19, v17, v123
	v_add_f32_e32 v111, v19, v93
	;; [unrolled: 1-line block ×3, first 2 shown]
	v_fma_f32 v112, -0.5, v19, v17
	v_sub_f32_e32 v17, v43, v41
	v_mov_b32_e32 v113, v112
	v_fmac_f32_e32 v113, 0x3f5db3d7, v17
	v_fmac_f32_e32 v112, 0xbf5db3d7, v17
	v_add_f32_e32 v17, v27, v43
	v_add_f32_e32 v87, v17, v41
	;; [unrolled: 1-line block ×3, first 2 shown]
	v_fma_f32 v19, -0.5, v17, v27
	v_sub_f32_e32 v17, v123, v93
	v_mov_b32_e32 v88, v19
	v_fmac_f32_e32 v88, 0xbf5db3d7, v17
	v_fmac_f32_e32 v19, 0x3f5db3d7, v17
	v_add_f32_e32 v17, v18, v79
	v_add_f32_e32 v41, v17, v96
	;; [unrolled: 1-line block ×3, first 2 shown]
	v_fmac_f32_e32 v18, -0.5, v17
	v_sub_f32_e32 v17, v44, v42
	v_mov_b32_e32 v43, v18
	v_fmac_f32_e32 v43, 0x3f5db3d7, v17
	v_fmac_f32_e32 v18, 0xbf5db3d7, v17
	v_add_f32_e32 v17, v28, v44
	v_add_f32_e32 v92, v17, v42
	v_add_f32_e32 v17, v44, v42
	v_fmac_f32_e32 v28, -0.5, v17
	v_sub_f32_e32 v17, v79, v96
	v_mov_b32_e32 v93, v28
	v_fmac_f32_e32 v93, 0xbf5db3d7, v17
	v_fmac_f32_e32 v28, 0x3f5db3d7, v17
	v_add_f32_e32 v17, v15, v80
	v_add_f32_e32 v37, v17, v49
	;; [unrolled: 1-line block ×3, first 2 shown]
	v_fma_f32 v38, -0.5, v17, v15
	v_sub_f32_e32 v15, v97, v98
	v_mov_b32_e32 v39, v38
	v_fmac_f32_e32 v39, 0x3f5db3d7, v15
	v_fmac_f32_e32 v38, 0xbf5db3d7, v15
	v_add_f32_e32 v15, v29, v97
	v_add_f32_e32 v79, v15, v98
	;; [unrolled: 1-line block ×3, first 2 shown]
	v_fma_f32 v29, -0.5, v15, v29
	v_sub_f32_e32 v15, v80, v49
	v_mov_b32_e32 v81, v29
	v_fmac_f32_e32 v81, 0xbf5db3d7, v15
	v_fmac_f32_e32 v29, 0x3f5db3d7, v15
	v_add_f32_e32 v15, v16, v99
	v_add_f32_e32 v42, v15, v50
	;; [unrolled: 1-line block ×3, first 2 shown]
	v_fmac_f32_e32 v16, -0.5, v15
	v_sub_f32_e32 v15, v40, v100
	v_mov_b32_e32 v44, v16
	v_fmac_f32_e32 v44, 0x3f5db3d7, v15
	v_fmac_f32_e32 v16, 0xbf5db3d7, v15
	v_add_f32_e32 v15, v30, v40
	v_add_f32_e32 v25, v15, v100
	;; [unrolled: 1-line block ×3, first 2 shown]
	v_fmac_f32_e32 v30, -0.5, v15
	v_sub_f32_e32 v15, v99, v50
	v_mov_b32_e32 v27, v30
	v_add_f32_e32 v17, v82, v47
	v_fmac_f32_e32 v27, 0xbf5db3d7, v15
	v_fmac_f32_e32 v30, 0x3f5db3d7, v15
	v_add_f32_e32 v15, v13, v82
	v_fma_f32 v13, -0.5, v17, v13
	v_sub_f32_e32 v17, v101, v102
	v_mov_b32_e32 v33, v13
	v_fmac_f32_e32 v33, 0x3f5db3d7, v17
	v_fmac_f32_e32 v13, 0xbf5db3d7, v17
	v_add_f32_e32 v17, v31, v101
	v_add_f32_e32 v80, v17, v102
	;; [unrolled: 1-line block ×3, first 2 shown]
	v_fma_f32 v31, -0.5, v17, v31
	v_sub_f32_e32 v17, v82, v47
	v_mov_b32_e32 v82, v31
	v_add_f32_e32 v34, v45, v48
	v_fmac_f32_e32 v82, 0xbf5db3d7, v17
	v_fmac_f32_e32 v31, 0x3f5db3d7, v17
	v_add_f32_e32 v17, v14, v45
	v_fmac_f32_e32 v14, -0.5, v34
	s_barrier
	ds_write2_b32 v0, v36, v46 offset1:90
	ds_write2_b32 v65, v35, v22 offset0:88 offset1:178
	ds_write2_b32 v58, v106, v21 offset0:52 offset1:172
	;; [unrolled: 1-line block ×3, first 2 shown]
	ds_write_b32 v0, v107 offset:3120
	v_mov_b32_e32 v21, 0xe10
	v_sub_f32_e32 v40, v103, v104
	v_mov_b32_e32 v34, v14
	v_cndmask_b32_e32 v21, 0, v21, vcc
	v_lshlrev_b32_e32 v22, 2, v51
	v_fmac_f32_e32 v34, 0x3f5db3d7, v40
	v_fmac_f32_e32 v14, 0xbf5db3d7, v40
	v_add_f32_e32 v40, v32, v103
	v_add3_u32 v96, 0, v21, v22
	v_add_f32_e32 v83, v40, v104
	v_add_f32_e32 v40, v103, v104
	ds_write_b32 v96, v109
	ds_write_b32 v96, v110 offset:1200
	ds_write_b32 v96, v20 offset:2400
	v_add_u32_e32 v20, 0xe00, v0
	v_fmac_f32_e32 v32, -0.5, v40
	ds_write2_b32 v20, v111, v41 offset0:64 offset1:154
	ds_write2_b32 v62, v113, v43 offset0:108 offset1:198
	;; [unrolled: 1-line block ×3, first 2 shown]
	v_mul_u32_u24_e32 v18, 0xe10, v52
	v_lshlrev_b32_e32 v21, 2, v53
	v_add_f32_e32 v15, v15, v47
	v_add_f32_e32 v17, v17, v48
	v_sub_f32_e32 v40, v45, v48
	v_mov_b32_e32 v84, v32
	v_add3_u32 v53, 0, v18, v21
	v_lshl_add_u32 v97, v56, 2, 0
	v_lshl_add_u32 v98, v55, 2, 0
	v_fmac_f32_e32 v84, 0xbf5db3d7, v40
	v_fmac_f32_e32 v32, 0x3f5db3d7, v40
	ds_write_b32 v53, v37
	ds_write_b32 v53, v39 offset:1200
	ds_write_b32 v53, v38 offset:2400
	;; [unrolled: 1-line block ×11, first 2 shown]
	s_waitcnt lgkmcnt(0)
	s_barrier
	ds_read2_b32 v[17:18], v0 offset1:90
	ds_read2_b32 v[33:34], v59 offset0:132 offset1:222
	ds_read2_b32 v[21:22], v57 offset0:8 offset1:98
	;; [unrolled: 1-line block ×14, first 2 shown]
	s_waitcnt lgkmcnt(0)
	s_barrier
	ds_write2_b32 v0, v78, v95 offset1:90
	ds_write2_b32 v65, v77, v24 offset0:88 offset1:178
	ds_write2_b32 v58, v94, v23 offset0:52 offset1:172
	;; [unrolled: 1-line block ×3, first 2 shown]
	ds_write_b32 v0, v86 offset:3120
	ds_write_b32 v96, v90
	ds_write_b32 v96, v91 offset:1200
	ds_write_b32 v96, v26 offset:2400
	ds_write2_b32 v20, v87, v92 offset0:64 offset1:154
	ds_write2_b32 v62, v88, v93 offset0:108 offset1:198
	ds_write2_b32 v70, v19, v28 offset0:24 offset1:114
	ds_write_b32 v53, v79
	ds_write_b32 v53, v81 offset:1200
	ds_write_b32 v53, v29 offset:2400
	;; [unrolled: 1-line block ×11, first 2 shown]
	s_waitcnt lgkmcnt(0)
	s_barrier
	s_and_saveexec_b64 s[6:7], s[0:1]
	s_cbranch_execz .LBB0_15
; %bb.14:
	v_lshlrev_b32_e32 v19, 1, v75
	v_mov_b32_e32 v20, v6
	v_lshlrev_b64 v[19:20], 3, v[19:20]
	v_mov_b32_e32 v86, s13
	v_add_co_u32_e32 v19, vcc, s12, v19
	v_addc_co_u32_e32 v20, vcc, v86, v20, vcc
	v_add_co_u32_e32 v19, vcc, 0x1000, v19
	v_addc_co_u32_e32 v20, vcc, 0, v20, vcc
	global_load_dwordx4 v[23:26], v[19:20], off offset:3080
	v_lshlrev_b32_e32 v19, 1, v74
	v_mov_b32_e32 v20, v6
	v_lshlrev_b64 v[19:20], 3, v[19:20]
	v_mul_lo_u32 v79, s2, v4
	v_add_co_u32_e32 v19, vcc, s12, v19
	v_addc_co_u32_e32 v20, vcc, v86, v20, vcc
	v_add_co_u32_e32 v19, vcc, s4, v19
	v_addc_co_u32_e32 v20, vcc, 0, v20, vcc
	global_load_dwordx4 v[27:30], v[19:20], off offset:3080
	v_lshlrev_b32_e32 v19, 1, v54
	v_mov_b32_e32 v20, v6
	v_lshlrev_b64 v[19:20], 3, v[19:20]
	v_mul_lo_u32 v78, s3, v3
	v_add_co_u32_e32 v4, vcc, s12, v19
	v_addc_co_u32_e32 v20, vcc, v86, v20, vcc
	v_add_co_u32_e32 v19, vcc, s4, v4
	v_addc_co_u32_e32 v20, vcc, 0, v20, vcc
	global_load_dwordx4 v[74:77], v[19:20], off offset:3080
	v_mad_u64_u32 v[53:54], s[0:1], s2, v3, 0
	ds_read2_b32 v[3:4], v70 offset0:84 offset1:174
	ds_read2_b32 v[19:20], v71 offset0:88 offset1:178
	;; [unrolled: 1-line block ×3, first 2 shown]
	v_lshlrev_b32_e32 v69, 1, v73
	v_mov_b32_e32 v70, v6
	v_lshlrev_b64 v[69:70], 3, v[69:70]
	v_add3_u32 v54, v54, v79, v78
	v_add_co_u32_e32 v69, vcc, s12, v69
	v_addc_co_u32_e32 v70, vcc, v86, v70, vcc
	v_add_co_u32_e32 v69, vcc, s4, v69
	v_addc_co_u32_e32 v70, vcc, 0, v70, vcc
	global_load_dwordx4 v[78:81], v[69:70], off offset:3080
	s_mov_b32 s0, 0x91a2b3c5
	s_movk_i32 s1, 0x3000
	s_waitcnt vmcnt(3) lgkmcnt(2)
	v_mul_f32_e32 v69, v24, v4
	s_waitcnt lgkmcnt(1)
	v_mul_f32_e32 v70, v26, v20
	v_mul_f32_e32 v4, v23, v4
	;; [unrolled: 1-line block ×3, first 2 shown]
	v_fmac_f32_e32 v4, v14, v24
	v_fmac_f32_e32 v20, v16, v26
	s_waitcnt vmcnt(2)
	v_mul_f32_e32 v71, v28, v3
	v_mul_f32_e32 v82, v27, v3
	;; [unrolled: 1-line block ×4, first 2 shown]
	v_fma_f32 v3, v14, v23, -v69
	v_fma_f32 v23, v16, v25, -v70
	;; [unrolled: 1-line block ×3, first 2 shown]
	v_fmac_f32_e32 v82, v13, v28
	v_add_f32_e32 v13, v4, v20
	v_fmac_f32_e32 v19, v15, v30
	s_waitcnt lgkmcnt(0)
	v_fma_f32 v14, -0.5, v13, v32
	v_fma_f32 v29, v15, v29, -v73
	v_sub_f32_e32 v24, v3, v23
	v_add_f32_e32 v15, v4, v32
	v_add_f32_e32 v26, v3, v23
	v_sub_f32_e32 v27, v4, v20
	v_add_f32_e32 v30, v82, v19
	v_mov_b32_e32 v4, v14
	v_add_f32_e32 v3, v56, v3
	v_fma_f32 v13, -0.5, v26, v56
	v_fmac_f32_e32 v14, 0xbf5db3d7, v24
	v_fmac_f32_e32 v4, 0x3f5db3d7, v24
	v_fma_f32 v24, -0.5, v30, v31
	v_sub_f32_e32 v28, v25, v29
	v_add_f32_e32 v16, v20, v15
	v_add_f32_e32 v15, v3, v23
	v_mov_b32_e32 v3, v13
	v_mov_b32_e32 v20, v24
	v_fmac_f32_e32 v13, 0x3f5db3d7, v27
	v_fmac_f32_e32 v3, 0xbf5db3d7, v27
	;; [unrolled: 1-line block ×4, first 2 shown]
	v_add_u32_e32 v27, 0x384, v5
	v_mov_b32_e32 v28, v6
	v_lshlrev_b64 v[27:28], 3, v[27:28]
	v_add_f32_e32 v23, v82, v31
	v_add_co_u32_e32 v27, vcc, s12, v27
	v_addc_co_u32_e32 v28, vcc, v86, v28, vcc
	v_add_co_u32_e32 v27, vcc, s4, v27
	v_addc_co_u32_e32 v28, vcc, 0, v28, vcc
	v_sub_f32_e32 v30, v82, v19
	global_load_dwordx4 v[82:85], v[27:28], off offset:3080
	ds_read2_b32 v[69:70], v67 offset0:160 offset1:250
	v_add_u32_e32 v5, 0x2d0, v5
	ds_read2_b32 v[66:67], v66 offset0:36 offset1:126
	v_lshlrev_b64 v[31:32], 3, v[5:6]
	v_add_f32_e32 v26, v19, v23
	v_add_f32_e32 v23, v25, v29
	;; [unrolled: 1-line block ×3, first 2 shown]
	v_add_co_u32_e32 v5, vcc, s12, v31
	v_add_f32_e32 v25, v25, v29
	v_addc_co_u32_e32 v29, vcc, v86, v32, vcc
	s_waitcnt vmcnt(2) lgkmcnt(1)
	v_mul_f32_e32 v27, v75, v70
	v_add_co_u32_e32 v31, vcc, s4, v5
	v_fma_f32 v23, -0.5, v23, v55
	v_fma_f32 v71, v50, v74, -v27
	s_waitcnt lgkmcnt(0)
	v_mul_f32_e32 v27, v77, v67
	ds_read2_b32 v[55:56], v65 offset0:28 offset1:118
	v_mul_f32_e32 v65, v74, v70
	v_addc_co_u32_e32 v32, vcc, 0, v29, vcc
	v_fma_f32 v87, v48, v76, -v27
	v_fmac_f32_e32 v65, v50, v75
	v_mul_f32_e32 v50, v76, v67
	global_load_dwordx4 v[73:76], v[31:32], off offset:3080
	v_fmac_f32_e32 v50, v48, v77
	v_mov_b32_e32 v19, v23
	v_add_f32_e32 v28, v65, v50
	s_waitcnt lgkmcnt(0)
	v_add_f32_e32 v5, v65, v56
	v_fmac_f32_e32 v19, 0xbf5db3d7, v30
	v_fmac_f32_e32 v23, 0x3f5db3d7, v30
	v_fma_f32 v30, -0.5, v28, v56
	v_add_f32_e32 v32, v50, v5
	v_add_f32_e32 v5, v71, v87
	v_sub_f32_e32 v27, v71, v87
	v_mov_b32_e32 v28, v30
	v_fma_f32 v29, -0.5, v5, v52
	v_fmac_f32_e32 v28, 0x3f5db3d7, v27
	v_fmac_f32_e32 v30, 0xbf5db3d7, v27
	v_sub_f32_e32 v5, v65, v50
	v_mov_b32_e32 v27, v29
	v_fmac_f32_e32 v27, 0xbf5db3d7, v5
	v_fmac_f32_e32 v29, 0x3f5db3d7, v5
	v_add_f32_e32 v5, v52, v71
	v_add_f32_e32 v31, v5, v87
	s_waitcnt vmcnt(2)
	v_mul_f32_e32 v5, v79, v69
	v_mul_f32_e32 v56, v78, v69
	;; [unrolled: 1-line block ×3, first 2 shown]
	v_fma_f32 v77, v49, v78, -v5
	v_mul_f32_e32 v5, v81, v66
	v_fmac_f32_e32 v56, v49, v79
	v_fmac_f32_e32 v67, v47, v81
	v_fma_f32 v87, v47, v80, -v5
	v_add_f32_e32 v5, v56, v67
	v_fma_f32 v50, -0.5, v5, v55
	v_lshlrev_b32_e32 v5, 1, v72
	v_lshlrev_b64 v[65:66], 3, v[5:6]
	v_sub_f32_e32 v52, v77, v87
	v_add_co_u32_e32 v5, vcc, s12, v65
	v_addc_co_u32_e32 v47, vcc, v86, v66, vcc
	v_mov_b32_e32 v48, v50
	v_add_co_u32_e32 v65, vcc, s4, v5
	v_add_f32_e32 v5, v56, v55
	v_fmac_f32_e32 v48, 0x3f5db3d7, v52
	v_addc_co_u32_e32 v66, vcc, 0, v47, vcc
	v_fmac_f32_e32 v50, 0xbf5db3d7, v52
	v_add_f32_e32 v52, v67, v5
	v_add_f32_e32 v5, v77, v87
	global_load_dwordx4 v[69:72], v[65:66], off offset:3080
	v_fma_f32 v49, -0.5, v5, v51
	v_sub_f32_e32 v5, v56, v67
	ds_read2_b32 v[66:67], v64 offset0:112 offset1:202
	ds_read2_b32 v[55:56], v62 offset0:108 offset1:198
	v_mov_b32_e32 v47, v49
	v_add_co_u32_e32 v11, vcc, s4, v11
	v_fmac_f32_e32 v47, 0xbf5db3d7, v5
	v_fmac_f32_e32 v49, 0x3f5db3d7, v5
	v_add_f32_e32 v5, v51, v77
	s_waitcnt vmcnt(2) lgkmcnt(1)
	v_mul_f32_e32 v62, v85, v67
	ds_read2_b32 v[77:78], v63 offset0:104 offset1:194
	v_addc_co_u32_e32 v12, vcc, 0, v12, vcc
	v_fma_f32 v86, v44, v84, -v62
	global_load_dwordx4 v[62:65], v[11:12], off offset:3080
	v_add_f32_e32 v51, v5, v87
	s_waitcnt lgkmcnt(1)
	v_mul_f32_e32 v5, v83, v56
	v_mul_f32_e32 v56, v82, v56
	;; [unrolled: 1-line block ×3, first 2 shown]
	v_fmac_f32_e32 v56, v46, v83
	v_fmac_f32_e32 v11, v44, v85
	v_add_f32_e32 v12, v56, v11
	v_fma_f32 v5, v46, v82, -v5
	s_waitcnt lgkmcnt(0)
	v_fma_f32 v79, -0.5, v12, v78
	v_add_f32_e32 v12, v56, v78
	v_add_f32_e32 v83, v11, v12
	;; [unrolled: 1-line block ×3, first 2 shown]
	v_sub_f32_e32 v80, v5, v86
	v_mov_b32_e32 v81, v79
	v_fma_f32 v78, -0.5, v12, v42
	v_add_co_u32_e32 v9, vcc, s4, v9
	v_fmac_f32_e32 v81, 0x3f5db3d7, v80
	v_fmac_f32_e32 v79, 0xbf5db3d7, v80
	v_sub_f32_e32 v11, v56, v11
	v_mov_b32_e32 v80, v78
	v_add_f32_e32 v5, v42, v5
	v_addc_co_u32_e32 v10, vcc, 0, v10, vcc
	v_fmac_f32_e32 v80, 0xbf5db3d7, v11
	v_fmac_f32_e32 v78, 0x3f5db3d7, v11
	v_add_f32_e32 v82, v5, v86
	s_waitcnt vmcnt(2)
	v_mul_f32_e32 v5, v74, v55
	global_load_dwordx4 v[9:12], v[9:10], off offset:3080
	v_mul_f32_e32 v44, v73, v55
	v_fma_f32 v5, v45, v73, -v5
	v_fmac_f32_e32 v44, v45, v74
	v_mul_f32_e32 v45, v75, v66
	v_mul_f32_e32 v42, v76, v66
	v_fmac_f32_e32 v45, v43, v76
	v_fma_f32 v46, v43, v75, -v42
	v_add_f32_e32 v43, v44, v45
	v_fma_f32 v56, -0.5, v43, v77
	v_sub_f32_e32 v42, v5, v46
	v_mov_b32_e32 v67, v56
	v_fmac_f32_e32 v67, 0x3f5db3d7, v42
	v_fmac_f32_e32 v56, 0xbf5db3d7, v42
	v_add_f32_e32 v42, v44, v77
	v_add_f32_e32 v74, v45, v42
	;; [unrolled: 1-line block ×3, first 2 shown]
	v_fma_f32 v55, -0.5, v42, v41
	v_add_co_u32_e32 v7, vcc, s4, v7
	v_sub_f32_e32 v42, v44, v45
	v_mov_b32_e32 v66, v55
	v_addc_co_u32_e32 v8, vcc, 0, v8, vcc
	v_fmac_f32_e32 v66, 0xbf5db3d7, v42
	v_fmac_f32_e32 v55, 0x3f5db3d7, v42
	global_load_dwordx4 v[42:45], v[7:8], off offset:3080
	ds_read2_b32 v[75:76], v61 offset0:56 offset1:146
	ds_read2_b32 v[7:8], v60 offset0:60 offset1:150
	;; [unrolled: 1-line block ×3, first 2 shown]
	v_add_f32_e32 v5, v41, v5
	v_add_f32_e32 v73, v5, v46
	s_waitcnt vmcnt(3) lgkmcnt(1)
	v_mul_f32_e32 v41, v72, v8
	v_mul_f32_e32 v58, v69, v76
	;; [unrolled: 1-line block ×3, first 2 shown]
	v_fmac_f32_e32 v58, v40, v70
	v_fmac_f32_e32 v8, v38, v72
	v_mul_f32_e32 v5, v70, v76
	v_fma_f32 v46, v38, v71, -v41
	v_add_f32_e32 v38, v58, v8
	v_fma_f32 v5, v40, v69, -v5
	s_waitcnt lgkmcnt(0)
	v_fma_f32 v41, -0.5, v38, v61
	v_add_f32_e32 v38, v58, v61
	v_sub_f32_e32 v77, v5, v46
	v_add_f32_e32 v72, v8, v38
	v_add_f32_e32 v38, v5, v46
	;; [unrolled: 1-line block ×3, first 2 shown]
	v_fma_f32 v40, -0.5, v38, v36
	v_sub_f32_e32 v8, v58, v8
	v_add_f32_e32 v71, v5, v46
	s_waitcnt vmcnt(2)
	v_mul_f32_e32 v46, v62, v75
	v_mul_f32_e32 v58, v64, v7
	v_mov_b32_e32 v69, v40
	v_fmac_f32_e32 v46, v39, v63
	v_fmac_f32_e32 v58, v37, v65
	;; [unrolled: 1-line block ×4, first 2 shown]
	v_mul_f32_e32 v8, v65, v7
	v_add_f32_e32 v7, v46, v58
	v_mul_f32_e32 v5, v63, v75
	v_fma_f32 v38, v37, v64, -v8
	v_fma_f32 v8, -0.5, v7, v60
	v_add_f32_e32 v7, v46, v60
	ds_read2_b32 v[60:61], v57 offset0:8 offset1:98
	v_fma_f32 v5, v39, v62, -v5
	v_add_f32_e32 v39, v58, v7
	v_sub_f32_e32 v46, v46, v58
	ds_read2_b32 v[58:59], v59 offset0:132 offset1:222
	v_add_f32_e32 v7, v5, v38
	v_sub_f32_e32 v36, v5, v38
	v_mov_b32_e32 v37, v8
	v_fma_f32 v7, -0.5, v7, v35
	ds_read2_b32 v[62:63], v0 offset1:90
	v_fmac_f32_e32 v37, 0x3f5db3d7, v36
	v_fmac_f32_e32 v8, 0xbf5db3d7, v36
	v_mov_b32_e32 v36, v7
	v_add_f32_e32 v5, v35, v5
	s_waitcnt vmcnt(1) lgkmcnt(2)
	v_mul_f32_e32 v35, v12, v61
	v_fmac_f32_e32 v36, 0xbf5db3d7, v46
	v_fmac_f32_e32 v7, 0x3f5db3d7, v46
	v_fma_f32 v46, v22, v11, -v35
	s_waitcnt lgkmcnt(1)
	v_mul_f32_e32 v0, v9, v59
	v_mul_f32_e32 v11, v11, v61
	v_add_f32_e32 v38, v5, v38
	v_mul_f32_e32 v5, v10, v59
	v_fmac_f32_e32 v0, v34, v10
	v_fmac_f32_e32 v11, v22, v12
	v_fma_f32 v5, v34, v9, -v5
	v_add_f32_e32 v9, v0, v11
	s_waitcnt lgkmcnt(0)
	v_fma_f32 v10, -0.5, v9, v63
	v_sub_f32_e32 v35, v5, v46
	v_mov_b32_e32 v12, v10
	v_add_f32_e32 v9, v0, v63
	v_fmac_f32_e32 v12, 0x3f5db3d7, v35
	v_fmac_f32_e32 v10, 0xbf5db3d7, v35
	v_add_f32_e32 v35, v11, v9
	v_add_f32_e32 v9, v5, v46
	v_fma_f32 v9, -0.5, v9, v18
	v_sub_f32_e32 v0, v0, v11
	v_mov_b32_e32 v11, v9
	v_fmac_f32_e32 v11, 0xbf5db3d7, v0
	v_fmac_f32_e32 v9, 0x3f5db3d7, v0
	v_add_f32_e32 v0, v18, v5
	v_add_f32_e32 v34, v0, v46
	s_waitcnt vmcnt(0)
	v_mul_f32_e32 v0, v43, v58
	v_fma_f32 v0, v33, v42, -v0
	v_mul_f32_e32 v42, v42, v58
	v_mul_f32_e32 v5, v45, v60
	v_fmac_f32_e32 v42, v33, v43
	v_mul_f32_e32 v33, v44, v60
	v_fma_f32 v5, v21, v44, -v5
	v_fmac_f32_e32 v33, v21, v45
	v_mul_hi_u32 v44, v68, s0
	v_add_f32_e32 v21, v42, v33
	v_fma_f32 v22, -0.5, v21, v62
	v_sub_f32_e32 v18, v0, v5
	v_mov_b32_e32 v43, v22
	v_add_f32_e32 v21, v0, v5
	v_add_f32_e32 v0, v17, v0
	v_fmac_f32_e32 v43, 0x3f5db3d7, v18
	v_fmac_f32_e32 v22, 0xbf5db3d7, v18
	v_add_f32_e32 v18, v42, v62
	v_fma_f32 v21, -0.5, v21, v17
	v_add_f32_e32 v17, v0, v5
	v_lshrrev_b32_e32 v0, 9, v44
	v_lshlrev_b64 v[44:45], 3, v[53:54]
	v_add_f32_e32 v18, v33, v18
	v_sub_f32_e32 v33, v42, v33
	v_mov_b32_e32 v42, v21
	v_mul_u32_u24_e32 v0, 0x384, v0
	v_fmac_f32_e32 v42, 0xbf5db3d7, v33
	v_fmac_f32_e32 v21, 0x3f5db3d7, v33
	v_sub_u32_e32 v5, v68, v0
	v_mov_b32_e32 v0, s11
	v_add_co_u32_e32 v33, vcc, s10, v44
	v_addc_co_u32_e32 v44, vcc, v0, v45, vcc
	v_lshlrev_b64 v[0:1], 3, v[1:2]
	v_mov_b32_e32 v70, v41
	v_add_co_u32_e32 v2, vcc, v33, v0
	v_addc_co_u32_e32 v33, vcc, v44, v1, vcc
	v_lshlrev_b32_e32 v0, 3, v5
	v_add_co_u32_e32 v0, vcc, v2, v0
	v_addc_co_u32_e32 v1, vcc, 0, v33, vcc
	global_store_dwordx2 v[0:1], v[17:18], off
	v_add_co_u32_e32 v17, vcc, s4, v0
	v_addc_co_u32_e32 v18, vcc, 0, v1, vcc
	v_add_u32_e32 v5, 0x5a, v68
	global_store_dwordx2 v[17:18], v[21:22], off offset:3104
	v_mul_hi_u32 v17, v5, s0
	v_add_co_u32_e32 v0, vcc, s1, v0
	v_addc_co_u32_e32 v1, vcc, 0, v1, vcc
	global_store_dwordx2 v[0:1], v[42:43], off offset:2112
	v_lshrrev_b32_e32 v0, 9, v17
	v_mul_u32_u24_e32 v1, 0x384, v0
	v_sub_u32_e32 v1, v5, v1
	s_movk_i32 s1, 0xa8c
	v_mad_u32_u24 v5, v0, s1, v1
	v_lshlrev_b64 v[0:1], 3, v[5:6]
	v_fmac_f32_e32 v41, 0xbf5db3d7, v77
	v_add_co_u32_e32 v0, vcc, v2, v0
	v_addc_co_u32_e32 v1, vcc, v33, v1, vcc
	global_store_dwordx2 v[0:1], v[34:35], off
	v_add_u32_e32 v0, 0x384, v5
	v_mov_b32_e32 v1, v6
	v_lshlrev_b64 v[0:1], 3, v[0:1]
	v_add_u32_e32 v5, 0x708, v5
	v_add_co_u32_e32 v0, vcc, v2, v0
	v_addc_co_u32_e32 v1, vcc, v33, v1, vcc
	global_store_dwordx2 v[0:1], v[9:10], off
	v_lshlrev_b64 v[0:1], 3, v[5:6]
	v_add_u32_e32 v5, 0xb4, v68
	v_mul_hi_u32 v9, v5, s0
	v_add_co_u32_e32 v0, vcc, v2, v0
	v_addc_co_u32_e32 v1, vcc, v33, v1, vcc
	global_store_dwordx2 v[0:1], v[11:12], off
	v_lshrrev_b32_e32 v0, 9, v9
	v_mul_u32_u24_e32 v1, 0x384, v0
	v_sub_u32_e32 v1, v5, v1
	v_mad_u32_u24 v5, v0, s1, v1
	v_lshlrev_b64 v[0:1], 3, v[5:6]
	v_fmac_f32_e32 v70, 0x3f5db3d7, v77
	v_add_co_u32_e32 v0, vcc, v2, v0
	v_addc_co_u32_e32 v1, vcc, v33, v1, vcc
	global_store_dwordx2 v[0:1], v[38:39], off
	v_add_u32_e32 v0, 0x384, v5
	v_mov_b32_e32 v1, v6
	v_lshlrev_b64 v[0:1], 3, v[0:1]
	v_add_u32_e32 v5, 0x708, v5
	v_add_co_u32_e32 v0, vcc, v2, v0
	v_addc_co_u32_e32 v1, vcc, v33, v1, vcc
	global_store_dwordx2 v[0:1], v[7:8], off
	v_lshlrev_b64 v[0:1], 3, v[5:6]
	v_add_u32_e32 v5, 0x10e, v68
	v_mul_hi_u32 v7, v5, s0
	v_add_co_u32_e32 v0, vcc, v2, v0
	v_addc_co_u32_e32 v1, vcc, v33, v1, vcc
	global_store_dwordx2 v[0:1], v[36:37], off
	v_lshrrev_b32_e32 v0, 9, v7
	v_mul_u32_u24_e32 v1, 0x384, v0
	v_sub_u32_e32 v1, v5, v1
	v_mad_u32_u24 v5, v0, s1, v1
	v_lshlrev_b64 v[0:1], 3, v[5:6]
	v_add_co_u32_e32 v0, vcc, v2, v0
	v_addc_co_u32_e32 v1, vcc, v33, v1, vcc
	global_store_dwordx2 v[0:1], v[71:72], off
	v_add_u32_e32 v0, 0x384, v5
	v_mov_b32_e32 v1, v6
	v_lshlrev_b64 v[0:1], 3, v[0:1]
	v_add_u32_e32 v5, 0x708, v5
	v_add_co_u32_e32 v0, vcc, v2, v0
	v_addc_co_u32_e32 v1, vcc, v33, v1, vcc
	global_store_dwordx2 v[0:1], v[40:41], off
	v_lshlrev_b64 v[0:1], 3, v[5:6]
	v_add_u32_e32 v5, 0x168, v68
	v_mul_hi_u32 v7, v5, s0
	v_add_co_u32_e32 v0, vcc, v2, v0
	v_addc_co_u32_e32 v1, vcc, v33, v1, vcc
	global_store_dwordx2 v[0:1], v[69:70], off
	v_lshrrev_b32_e32 v0, 9, v7
	v_mul_u32_u24_e32 v1, 0x384, v0
	v_sub_u32_e32 v1, v5, v1
	v_mad_u32_u24 v5, v0, s1, v1
	v_lshlrev_b64 v[0:1], 3, v[5:6]
	v_add_co_u32_e32 v0, vcc, v2, v0
	v_addc_co_u32_e32 v1, vcc, v33, v1, vcc
	global_store_dwordx2 v[0:1], v[73:74], off
	v_add_u32_e32 v0, 0x384, v5
	v_mov_b32_e32 v1, v6
	v_lshlrev_b64 v[0:1], 3, v[0:1]
	v_add_u32_e32 v5, 0x708, v5
	v_add_co_u32_e32 v0, vcc, v2, v0
	v_addc_co_u32_e32 v1, vcc, v33, v1, vcc
	global_store_dwordx2 v[0:1], v[55:56], off
	v_lshlrev_b64 v[0:1], 3, v[5:6]
	v_add_u32_e32 v5, 0x1c2, v68
	v_mul_hi_u32 v7, v5, s0
	v_add_co_u32_e32 v0, vcc, v2, v0
	v_addc_co_u32_e32 v1, vcc, v33, v1, vcc
	global_store_dwordx2 v[0:1], v[66:67], off
	v_lshrrev_b32_e32 v0, 9, v7
	v_mul_u32_u24_e32 v1, 0x384, v0
	v_sub_u32_e32 v1, v5, v1
	v_mad_u32_u24 v5, v0, s1, v1
	v_lshlrev_b64 v[0:1], 3, v[5:6]
	v_add_co_u32_e32 v0, vcc, v2, v0
	v_addc_co_u32_e32 v1, vcc, v33, v1, vcc
	global_store_dwordx2 v[0:1], v[82:83], off
	v_add_u32_e32 v0, 0x384, v5
	v_mov_b32_e32 v1, v6
	v_lshlrev_b64 v[0:1], 3, v[0:1]
	v_add_u32_e32 v5, 0x708, v5
	v_add_co_u32_e32 v0, vcc, v2, v0
	v_addc_co_u32_e32 v1, vcc, v33, v1, vcc
	global_store_dwordx2 v[0:1], v[78:79], off
	v_lshlrev_b64 v[0:1], 3, v[5:6]
	v_add_u32_e32 v5, 0x21c, v68
	v_mul_hi_u32 v7, v5, s0
	v_add_co_u32_e32 v0, vcc, v2, v0
	v_addc_co_u32_e32 v1, vcc, v33, v1, vcc
	global_store_dwordx2 v[0:1], v[80:81], off
	v_lshrrev_b32_e32 v0, 9, v7
	v_mul_u32_u24_e32 v1, 0x384, v0
	v_sub_u32_e32 v1, v5, v1
	v_mad_u32_u24 v5, v0, s1, v1
	v_lshlrev_b64 v[0:1], 3, v[5:6]
	v_add_co_u32_e32 v0, vcc, v2, v0
	v_addc_co_u32_e32 v1, vcc, v33, v1, vcc
	global_store_dwordx2 v[0:1], v[51:52], off
	v_add_u32_e32 v0, 0x384, v5
	v_mov_b32_e32 v1, v6
	v_lshlrev_b64 v[0:1], 3, v[0:1]
	v_add_u32_e32 v5, 0x708, v5
	v_add_co_u32_e32 v0, vcc, v2, v0
	v_addc_co_u32_e32 v1, vcc, v33, v1, vcc
	global_store_dwordx2 v[0:1], v[49:50], off
	v_lshlrev_b64 v[0:1], 3, v[5:6]
	v_add_u32_e32 v5, 0x276, v68
	v_mul_hi_u32 v7, v5, s0
	v_add_co_u32_e32 v0, vcc, v2, v0
	v_addc_co_u32_e32 v1, vcc, v33, v1, vcc
	global_store_dwordx2 v[0:1], v[47:48], off
	v_lshrrev_b32_e32 v0, 9, v7
	v_mul_u32_u24_e32 v1, 0x384, v0
	v_sub_u32_e32 v1, v5, v1
	v_mad_u32_u24 v5, v0, s1, v1
	v_lshlrev_b64 v[0:1], 3, v[5:6]
	v_add_co_u32_e32 v0, vcc, v2, v0
	v_addc_co_u32_e32 v1, vcc, v33, v1, vcc
	global_store_dwordx2 v[0:1], v[31:32], off
	v_add_u32_e32 v0, 0x384, v5
	v_mov_b32_e32 v1, v6
	v_lshlrev_b64 v[0:1], 3, v[0:1]
	v_add_u32_e32 v5, 0x708, v5
	v_add_co_u32_e32 v0, vcc, v2, v0
	v_addc_co_u32_e32 v1, vcc, v33, v1, vcc
	global_store_dwordx2 v[0:1], v[29:30], off
	v_lshlrev_b64 v[0:1], 3, v[5:6]
	v_add_u32_e32 v5, 0x2d0, v68
	v_mul_hi_u32 v7, v5, s0
	v_add_co_u32_e32 v0, vcc, v2, v0
	v_addc_co_u32_e32 v1, vcc, v33, v1, vcc
	global_store_dwordx2 v[0:1], v[27:28], off
	v_lshrrev_b32_e32 v0, 9, v7
	v_mul_u32_u24_e32 v1, 0x384, v0
	v_sub_u32_e32 v1, v5, v1
	v_mad_u32_u24 v5, v0, s1, v1
	v_lshlrev_b64 v[0:1], 3, v[5:6]
	v_add_co_u32_e32 v0, vcc, v2, v0
	v_addc_co_u32_e32 v1, vcc, v33, v1, vcc
	global_store_dwordx2 v[0:1], v[25:26], off
	v_add_u32_e32 v0, 0x384, v5
	v_mov_b32_e32 v1, v6
	v_lshlrev_b64 v[0:1], 3, v[0:1]
	v_add_u32_e32 v5, 0x708, v5
	v_add_co_u32_e32 v0, vcc, v2, v0
	v_addc_co_u32_e32 v1, vcc, v33, v1, vcc
	global_store_dwordx2 v[0:1], v[23:24], off
	v_lshlrev_b64 v[0:1], 3, v[5:6]
	v_add_u32_e32 v5, 0x32a, v68
	v_mul_hi_u32 v7, v5, s0
	v_add_co_u32_e32 v0, vcc, v2, v0
	v_addc_co_u32_e32 v1, vcc, v33, v1, vcc
	global_store_dwordx2 v[0:1], v[19:20], off
	v_lshrrev_b32_e32 v0, 9, v7
	v_mul_u32_u24_e32 v1, 0x384, v0
	v_sub_u32_e32 v1, v5, v1
	v_mad_u32_u24 v5, v0, s1, v1
	v_lshlrev_b64 v[0:1], 3, v[5:6]
	v_add_co_u32_e32 v0, vcc, v2, v0
	v_addc_co_u32_e32 v1, vcc, v33, v1, vcc
	global_store_dwordx2 v[0:1], v[15:16], off
	v_add_u32_e32 v0, 0x384, v5
	v_mov_b32_e32 v1, v6
	v_lshlrev_b64 v[0:1], 3, v[0:1]
	v_add_u32_e32 v5, 0x708, v5
	v_add_co_u32_e32 v0, vcc, v2, v0
	v_addc_co_u32_e32 v1, vcc, v33, v1, vcc
	global_store_dwordx2 v[0:1], v[13:14], off
	v_lshlrev_b64 v[0:1], 3, v[5:6]
	v_add_co_u32_e32 v0, vcc, v2, v0
	v_addc_co_u32_e32 v1, vcc, v33, v1, vcc
	global_store_dwordx2 v[0:1], v[3:4], off
.LBB0_15:
	s_endpgm
	.section	.rodata,"a",@progbits
	.p2align	6, 0x0
	.amdhsa_kernel fft_rtc_fwd_len2700_factors_3_10_10_3_3_wgs_90_tpt_90_halfLds_sp_op_CI_CI_unitstride_sbrr_dirReg
		.amdhsa_group_segment_fixed_size 0
		.amdhsa_private_segment_fixed_size 0
		.amdhsa_kernarg_size 104
		.amdhsa_user_sgpr_count 6
		.amdhsa_user_sgpr_private_segment_buffer 1
		.amdhsa_user_sgpr_dispatch_ptr 0
		.amdhsa_user_sgpr_queue_ptr 0
		.amdhsa_user_sgpr_kernarg_segment_ptr 1
		.amdhsa_user_sgpr_dispatch_id 0
		.amdhsa_user_sgpr_flat_scratch_init 0
		.amdhsa_user_sgpr_private_segment_size 0
		.amdhsa_uses_dynamic_stack 0
		.amdhsa_system_sgpr_private_segment_wavefront_offset 0
		.amdhsa_system_sgpr_workgroup_id_x 1
		.amdhsa_system_sgpr_workgroup_id_y 0
		.amdhsa_system_sgpr_workgroup_id_z 0
		.amdhsa_system_sgpr_workgroup_info 0
		.amdhsa_system_vgpr_workitem_id 0
		.amdhsa_next_free_vgpr 129
		.amdhsa_next_free_sgpr 28
		.amdhsa_reserve_vcc 1
		.amdhsa_reserve_flat_scratch 0
		.amdhsa_float_round_mode_32 0
		.amdhsa_float_round_mode_16_64 0
		.amdhsa_float_denorm_mode_32 3
		.amdhsa_float_denorm_mode_16_64 3
		.amdhsa_dx10_clamp 1
		.amdhsa_ieee_mode 1
		.amdhsa_fp16_overflow 0
		.amdhsa_exception_fp_ieee_invalid_op 0
		.amdhsa_exception_fp_denorm_src 0
		.amdhsa_exception_fp_ieee_div_zero 0
		.amdhsa_exception_fp_ieee_overflow 0
		.amdhsa_exception_fp_ieee_underflow 0
		.amdhsa_exception_fp_ieee_inexact 0
		.amdhsa_exception_int_div_zero 0
	.end_amdhsa_kernel
	.text
.Lfunc_end0:
	.size	fft_rtc_fwd_len2700_factors_3_10_10_3_3_wgs_90_tpt_90_halfLds_sp_op_CI_CI_unitstride_sbrr_dirReg, .Lfunc_end0-fft_rtc_fwd_len2700_factors_3_10_10_3_3_wgs_90_tpt_90_halfLds_sp_op_CI_CI_unitstride_sbrr_dirReg
                                        ; -- End function
	.section	.AMDGPU.csdata,"",@progbits
; Kernel info:
; codeLenInByte = 17004
; NumSgprs: 32
; NumVgprs: 129
; ScratchSize: 0
; MemoryBound: 0
; FloatMode: 240
; IeeeMode: 1
; LDSByteSize: 0 bytes/workgroup (compile time only)
; SGPRBlocks: 3
; VGPRBlocks: 32
; NumSGPRsForWavesPerEU: 32
; NumVGPRsForWavesPerEU: 129
; Occupancy: 1
; WaveLimiterHint : 1
; COMPUTE_PGM_RSRC2:SCRATCH_EN: 0
; COMPUTE_PGM_RSRC2:USER_SGPR: 6
; COMPUTE_PGM_RSRC2:TRAP_HANDLER: 0
; COMPUTE_PGM_RSRC2:TGID_X_EN: 1
; COMPUTE_PGM_RSRC2:TGID_Y_EN: 0
; COMPUTE_PGM_RSRC2:TGID_Z_EN: 0
; COMPUTE_PGM_RSRC2:TIDIG_COMP_CNT: 0
	.type	__hip_cuid_6b703c47d083f4f0,@object ; @__hip_cuid_6b703c47d083f4f0
	.section	.bss,"aw",@nobits
	.globl	__hip_cuid_6b703c47d083f4f0
__hip_cuid_6b703c47d083f4f0:
	.byte	0                               ; 0x0
	.size	__hip_cuid_6b703c47d083f4f0, 1

	.ident	"AMD clang version 19.0.0git (https://github.com/RadeonOpenCompute/llvm-project roc-6.4.0 25133 c7fe45cf4b819c5991fe208aaa96edf142730f1d)"
	.section	".note.GNU-stack","",@progbits
	.addrsig
	.addrsig_sym __hip_cuid_6b703c47d083f4f0
	.amdgpu_metadata
---
amdhsa.kernels:
  - .args:
      - .actual_access:  read_only
        .address_space:  global
        .offset:         0
        .size:           8
        .value_kind:     global_buffer
      - .offset:         8
        .size:           8
        .value_kind:     by_value
      - .actual_access:  read_only
        .address_space:  global
        .offset:         16
        .size:           8
        .value_kind:     global_buffer
      - .actual_access:  read_only
        .address_space:  global
        .offset:         24
        .size:           8
        .value_kind:     global_buffer
      - .actual_access:  read_only
        .address_space:  global
        .offset:         32
        .size:           8
        .value_kind:     global_buffer
      - .offset:         40
        .size:           8
        .value_kind:     by_value
      - .actual_access:  read_only
        .address_space:  global
        .offset:         48
        .size:           8
        .value_kind:     global_buffer
      - .actual_access:  read_only
        .address_space:  global
        .offset:         56
        .size:           8
        .value_kind:     global_buffer
      - .offset:         64
        .size:           4
        .value_kind:     by_value
      - .actual_access:  read_only
        .address_space:  global
        .offset:         72
        .size:           8
        .value_kind:     global_buffer
      - .actual_access:  read_only
        .address_space:  global
        .offset:         80
        .size:           8
        .value_kind:     global_buffer
      - .actual_access:  read_only
        .address_space:  global
        .offset:         88
        .size:           8
        .value_kind:     global_buffer
      - .actual_access:  write_only
        .address_space:  global
        .offset:         96
        .size:           8
        .value_kind:     global_buffer
    .group_segment_fixed_size: 0
    .kernarg_segment_align: 8
    .kernarg_segment_size: 104
    .language:       OpenCL C
    .language_version:
      - 2
      - 0
    .max_flat_workgroup_size: 90
    .name:           fft_rtc_fwd_len2700_factors_3_10_10_3_3_wgs_90_tpt_90_halfLds_sp_op_CI_CI_unitstride_sbrr_dirReg
    .private_segment_fixed_size: 0
    .sgpr_count:     32
    .sgpr_spill_count: 0
    .symbol:         fft_rtc_fwd_len2700_factors_3_10_10_3_3_wgs_90_tpt_90_halfLds_sp_op_CI_CI_unitstride_sbrr_dirReg.kd
    .uniform_work_group_size: 1
    .uses_dynamic_stack: false
    .vgpr_count:     129
    .vgpr_spill_count: 0
    .wavefront_size: 64
amdhsa.target:   amdgcn-amd-amdhsa--gfx906
amdhsa.version:
  - 1
  - 2
...

	.end_amdgpu_metadata
